;; amdgpu-corpus repo=ROCm/rocFFT kind=compiled arch=gfx950 opt=O3
	.text
	.amdgcn_target "amdgcn-amd-amdhsa--gfx950"
	.amdhsa_code_object_version 6
	.protected	bluestein_single_fwd_len238_dim1_dp_op_CI_CI ; -- Begin function bluestein_single_fwd_len238_dim1_dp_op_CI_CI
	.globl	bluestein_single_fwd_len238_dim1_dp_op_CI_CI
	.p2align	8
	.type	bluestein_single_fwd_len238_dim1_dp_op_CI_CI,@function
bluestein_single_fwd_len238_dim1_dp_op_CI_CI: ; @bluestein_single_fwd_len238_dim1_dp_op_CI_CI
; %bb.0:
	s_load_dwordx4 s[8:11], s[0:1], 0x28
	v_mul_u32_u24_e32 v1, 0xf10, v0
	v_lshrrev_b32_e32 v2, 16, v1
	v_mad_u64_u32 v[150:151], s[2:3], s2, 3, v[2:3]
	v_mov_b32_e32 v151, 0
	s_waitcnt lgkmcnt(0)
	v_cmp_gt_u64_e32 vcc, s[8:9], v[150:151]
	s_and_saveexec_b64 s[2:3], vcc
	s_cbranch_execz .LBB0_15
; %bb.1:
	v_mul_lo_u16_e32 v1, 17, v2
	s_mov_b32 s2, 0xaaaaaaab
	v_sub_u16_e32 v172, v0, v1
	v_mul_hi_u32 v0, v150, s2
	s_load_dwordx2 s[8:9], s[0:1], 0x0
	s_load_dwordx2 s[12:13], s[0:1], 0x38
	v_lshrrev_b32_e32 v0, 1, v0
	v_lshl_add_u32 v0, v0, 1, v0
	v_sub_u32_e32 v0, v150, v0
	v_mul_u32_u24_e32 v151, 0xee, v0
	v_cmp_gt_u16_e32 vcc, 14, v172
	v_lshlrev_b32_e32 v173, 4, v172
	v_lshlrev_b32_e32 v156, 4, v151
	s_and_saveexec_b64 s[2:3], vcc
	s_cbranch_execz .LBB0_3
; %bb.2:
	s_load_dwordx2 s[4:5], s[0:1], 0x18
	v_mov_b32_e32 v0, s10
	v_mov_b32_e32 v1, s11
	v_or_b32_e32 v59, 0x70, v172
	v_mov_b32_e32 v57, 0xe0
	s_waitcnt lgkmcnt(0)
	s_load_dwordx4 s[4:7], s[4:5], 0x0
	v_mov_b32_e32 v100, 0x1c0
	v_lshl_add_u32 v58, v172, 4, v156
	v_add_u32_e32 v56, v156, v173
	s_waitcnt lgkmcnt(0)
	v_mad_u64_u32 v[2:3], s[10:11], s6, v150, 0
	v_mad_u64_u32 v[4:5], s[10:11], s4, v172, 0
	v_mov_b32_e32 v6, v3
	v_mov_b32_e32 v8, v5
	v_mad_u64_u32 v[6:7], s[6:7], s7, v150, v[6:7]
	v_mov_b32_e32 v3, v6
	v_mad_u64_u32 v[6:7], s[6:7], s5, v172, v[8:9]
	v_mov_b32_e32 v5, v6
	v_lshl_add_u64 v[52:53], v[2:3], 4, v[0:1]
	v_lshl_add_u64 v[54:55], v[4:5], 4, v[52:53]
	v_mad_u64_u32 v[96:97], s[6:7], s4, v59, 0
	global_load_dwordx4 v[0:3], v[54:55], off
	global_load_dwordx4 v[4:7], v173, s[8:9]
	s_mul_i32 s10, s5, 0xe0
	v_mad_u64_u32 v[54:55], s[6:7], s4, v57, v[54:55]
	v_mov_b32_e32 v98, v97
	v_add_u32_e32 v55, s10, v55
	v_mad_u64_u32 v[98:99], s[6:7], s5, v59, v[98:99]
	global_load_dwordx4 v[8:11], v173, s[8:9] offset:224
	global_load_dwordx4 v[12:15], v173, s[8:9] offset:448
	;; [unrolled: 1-line block ×11, first 2 shown]
	global_load_dwordx4 v[60:63], v[54:55], off
	global_load_dwordx4 v[64:67], v173, s[8:9] offset:2688
	global_load_dwordx4 v[68:71], v173, s[8:9] offset:2912
	v_mad_u64_u32 v[54:55], s[6:7], s4, v57, v[54:55]
	v_mov_b32_e32 v97, v98
	v_add_u32_e32 v55, s10, v55
	v_lshl_add_u64 v[96:97], v[96:97], 4, v[52:53]
	global_load_dwordx4 v[72:75], v[54:55], off
	s_mul_i32 s11, s5, 0x1c0
	global_load_dwordx4 v[96:99], v[96:97], off
	v_mad_u64_u32 v[54:55], s[6:7], s4, v57, v[54:55]
	v_add_u32_e32 v55, s10, v55
	global_load_dwordx4 v[76:79], v[54:55], off
	v_mad_u64_u32 v[54:55], s[6:7], s4, v57, v[54:55]
	v_add_u32_e32 v55, s10, v55
	;; [unrolled: 3-line block ×12, first 2 shown]
	v_or_b32_e32 v57, 0xe0, v172
	global_load_dwordx4 v[128:131], v[54:55], off
	global_load_dwordx4 v[132:135], v173, s[8:9] offset:3136
	global_load_dwordx4 v[136:139], v173, s[8:9] offset:3360
	v_mad_u64_u32 v[54:55], s[6:7], s4, v57, 0
	v_mov_b32_e32 v122, v55
	v_mad_u64_u32 v[122:123], s[4:5], s5, v57, v[122:123]
	v_mov_b32_e32 v55, v122
	v_lshl_add_u64 v[52:53], v[54:55], 4, v[52:53]
	global_load_dwordx4 v[52:55], v[52:53], off
	s_nop 0
	global_load_dwordx4 v[140:143], v173, s[8:9] offset:3584
	s_waitcnt vmcnt(32)
	v_mul_f64 v[120:121], v[2:3], v[6:7]
	v_mul_f64 v[6:7], v[0:1], v[6:7]
	v_fmac_f64_e32 v[120:121], v[0:1], v[4:5]
	v_fma_f64 v[122:123], v[2:3], v[4:5], -v[6:7]
	ds_write_b128 v58, v[120:123]
	s_waitcnt vmcnt(20)
	v_mul_f64 v[0:1], v[62:63], v[10:11]
	v_mul_f64 v[2:3], v[60:61], v[10:11]
	v_fmac_f64_e32 v[0:1], v[60:61], v[8:9]
	v_fma_f64 v[2:3], v[62:63], v[8:9], -v[2:3]
	ds_write_b128 v56, v[0:3] offset:224
	s_waitcnt vmcnt(17)
	v_mul_f64 v[0:1], v[74:75], v[14:15]
	v_mul_f64 v[2:3], v[72:73], v[14:15]
	v_fmac_f64_e32 v[0:1], v[72:73], v[12:13]
	v_fma_f64 v[2:3], v[74:75], v[12:13], -v[2:3]
	ds_write_b128 v56, v[0:3] offset:448
	;; [unrolled: 6-line block ×7, first 2 shown]
	v_mul_f64 v[0:1], v[98:99], v[38:39]
	v_mul_f64 v[2:3], v[96:97], v[38:39]
	v_fmac_f64_e32 v[0:1], v[96:97], v[36:37]
	v_fma_f64 v[2:3], v[98:99], v[36:37], -v[2:3]
	ds_write_b128 v56, v[0:3] offset:1792
	s_waitcnt vmcnt(10)
	v_mul_f64 v[0:1], v[102:103], v[42:43]
	v_mul_f64 v[2:3], v[100:101], v[42:43]
	v_fmac_f64_e32 v[0:1], v[100:101], v[40:41]
	v_fma_f64 v[2:3], v[102:103], v[40:41], -v[2:3]
	ds_write_b128 v56, v[0:3] offset:2016
	s_waitcnt vmcnt(9)
	;; [unrolled: 6-line block ×8, first 2 shown]
	v_mul_f64 v[0:1], v[54:55], v[142:143]
	v_mul_f64 v[2:3], v[52:53], v[142:143]
	v_fmac_f64_e32 v[0:1], v[52:53], v[140:141]
	v_fma_f64 v[2:3], v[54:55], v[140:141], -v[2:3]
	ds_write_b128 v56, v[0:3] offset:3584
.LBB0_3:
	s_or_b64 exec, exec, s[2:3]
	s_load_dwordx2 s[2:3], s[0:1], 0x20
	s_load_dwordx2 s[4:5], s[0:1], 0x8
	s_waitcnt lgkmcnt(0)
	; wave barrier
	s_waitcnt lgkmcnt(0)
                                        ; implicit-def: $vgpr12_vgpr13
                                        ; implicit-def: $vgpr16_vgpr17
                                        ; implicit-def: $vgpr20_vgpr21
                                        ; implicit-def: $vgpr24_vgpr25
                                        ; implicit-def: $vgpr28_vgpr29
                                        ; implicit-def: $vgpr32_vgpr33
                                        ; implicit-def: $vgpr36_vgpr37
                                        ; implicit-def: $vgpr40_vgpr41
                                        ; implicit-def: $vgpr44_vgpr45
                                        ; implicit-def: $vgpr48_vgpr49
                                        ; implicit-def: $vgpr52_vgpr53
                                        ; implicit-def: $vgpr56_vgpr57
                                        ; implicit-def: $vgpr60_vgpr61
                                        ; implicit-def: $vgpr64_vgpr65
                                        ; implicit-def: $vgpr68_vgpr69
                                        ; implicit-def: $vgpr72_vgpr73
                                        ; implicit-def: $vgpr76_vgpr77
	s_and_saveexec_b64 s[0:1], vcc
	s_cbranch_execz .LBB0_5
; %bb.4:
	v_lshl_add_u32 v0, v151, 4, v173
	ds_read_b128 v[12:15], v0
	ds_read_b128 v[16:19], v0 offset:224
	ds_read_b128 v[20:23], v0 offset:448
	ds_read_b128 v[24:27], v0 offset:672
	ds_read_b128 v[28:31], v0 offset:896
	ds_read_b128 v[32:35], v0 offset:1120
	ds_read_b128 v[36:39], v0 offset:1344
	ds_read_b128 v[40:43], v0 offset:1568
	ds_read_b128 v[44:47], v0 offset:1792
	ds_read_b128 v[48:51], v0 offset:2016
	ds_read_b128 v[52:55], v0 offset:2240
	ds_read_b128 v[56:59], v0 offset:2464
	ds_read_b128 v[60:63], v0 offset:2688
	ds_read_b128 v[64:67], v0 offset:2912
	ds_read_b128 v[68:71], v0 offset:3136
	ds_read_b128 v[72:75], v0 offset:3360
	ds_read_b128 v[76:79], v0 offset:3584
.LBB0_5:
	s_or_b64 exec, exec, s[0:1]
	s_mov_b32 s30, 0x5d8e7cdc
	s_waitcnt lgkmcnt(0)
	v_add_f64 v[112:113], v[18:19], -v[78:79]
	s_mov_b32 s0, 0x370991
	s_mov_b32 s31, 0xbfd71e95
	;; [unrolled: 1-line block ×3, first 2 shown]
	v_add_f64 v[138:139], v[16:17], v[76:77]
	v_add_f64 v[116:117], v[16:17], -v[76:77]
	s_mov_b32 s1, 0x3fedd6d0
	v_mul_f64 v[82:83], v[112:113], s[30:31]
	s_mov_b32 s10, 0x75d4884
	s_mov_b32 s23, 0xbfe58eea
	v_add_f64 v[114:115], v[22:23], -v[74:75]
	v_add_f64 v[140:141], v[18:19], v[78:79]
	v_mul_f64 v[84:85], v[116:117], s[30:31]
	v_fma_f64 v[0:1], s[0:1], v[138:139], v[82:83]
	s_mov_b32 s11, 0x3fe7a5f6
	s_mov_b32 s24, 0x7c9e640b
	v_add_f64 v[146:147], v[20:21], v[72:73]
	v_add_f64 v[118:119], v[20:21], -v[72:73]
	v_mul_f64 v[86:87], v[114:115], s[22:23]
	v_add_f64 v[0:1], v[12:13], v[0:1]
	v_fma_f64 v[2:3], v[140:141], s[0:1], -v[84:85]
	s_mov_b32 s6, 0x2b2883cd
	s_mov_b32 s25, 0xbfeca52d
	v_add_f64 v[148:149], v[22:23], v[74:75]
	v_mul_f64 v[88:89], v[118:119], s[22:23]
	v_fma_f64 v[4:5], s[10:11], v[146:147], v[86:87]
	v_add_f64 v[218:219], v[26:27], -v[70:71]
	v_add_f64 v[2:3], v[14:15], v[2:3]
	s_mov_b32 s7, 0x3fdc86fa
	v_add_f64 v[0:1], v[4:5], v[0:1]
	v_fma_f64 v[4:5], v[148:149], s[10:11], -v[88:89]
	s_mov_b32 s28, 0xeb564b22
	v_add_f64 v[152:153], v[24:25], v[68:69]
	v_add_f64 v[198:199], v[24:25], -v[68:69]
	v_mul_f64 v[90:91], v[218:219], s[24:25]
	v_add_f64 v[2:3], v[4:5], v[2:3]
	s_mov_b32 s14, 0x3259b75e
	s_mov_b32 s29, 0xbfefdd0d
	v_add_f64 v[154:155], v[26:27], v[70:71]
	v_mul_f64 v[92:93], v[198:199], s[24:25]
	v_fma_f64 v[4:5], s[6:7], v[152:153], v[90:91]
	v_add_f64 v[224:225], v[30:31], -v[66:67]
	s_mov_b32 s15, 0x3fb79ee6
	v_add_f64 v[0:1], v[4:5], v[0:1]
	v_fma_f64 v[4:5], v[154:155], s[6:7], -v[92:93]
	v_add_f64 v[158:159], v[28:29], v[64:65]
	v_add_f64 v[214:215], v[28:29], -v[64:65]
	v_mul_f64 v[94:95], v[224:225], s[28:29]
	s_mov_b32 s36, 0x923c349f
	v_add_f64 v[2:3], v[4:5], v[2:3]
	v_add_f64 v[160:161], v[30:31], v[66:67]
	v_mul_f64 v[96:97], v[214:215], s[28:29]
	v_fma_f64 v[4:5], s[14:15], v[158:159], v[94:95]
	s_mov_b32 s18, 0xc61f0d01
	s_mov_b32 s37, 0x3feec746
	v_add_f64 v[228:229], v[34:35], -v[62:63]
	s_mov_b32 s39, 0xbfeec746
	s_mov_b32 s38, s36
	v_add_f64 v[0:1], v[4:5], v[0:1]
	v_fma_f64 v[4:5], v[160:161], s[14:15], -v[96:97]
	s_mov_b32 s19, 0xbfd183b1
	v_add_f64 v[164:165], v[32:33], v[60:61]
	v_mul_f64 v[98:99], v[228:229], s[38:39]
	v_add_f64 v[226:227], v[32:33], -v[60:61]
	s_mov_b32 s40, 0x6c9a05f6
	v_add_f64 v[2:3], v[4:5], v[2:3]
	v_fma_f64 v[4:5], s[18:19], v[164:165], v[98:99]
	v_add_f64 v[168:169], v[34:35], v[62:63]
	v_mul_f64 v[100:101], v[226:227], s[38:39]
	s_mov_b32 s20, 0x6ed5f1bb
	s_mov_b32 s41, 0xbfe9895b
	v_add_f64 v[234:235], v[38:39], -v[58:59]
	v_add_f64 v[0:1], v[4:5], v[0:1]
	v_fma_f64 v[4:5], v[168:169], s[18:19], -v[100:101]
	s_mov_b32 s21, 0xbfe348c8
	v_add_f64 v[174:175], v[36:37], v[56:57]
	v_mul_f64 v[102:103], v[234:235], s[40:41]
	v_add_f64 v[230:231], v[36:37], -v[56:57]
	s_mov_b32 s46, 0x4363dd80
	v_add_f64 v[2:3], v[4:5], v[2:3]
	v_fma_f64 v[4:5], s[20:21], v[174:175], v[102:103]
	v_add_f64 v[176:177], v[38:39], v[58:59]
	v_mul_f64 v[104:105], v[230:231], s[40:41]
	s_mov_b32 s26, 0x910ea3b9
	s_mov_b32 s47, 0x3fe0d888
	;; [unrolled: 1-line block ×4, first 2 shown]
	v_add_f64 v[244:245], v[42:43], -v[54:55]
	v_add_f64 v[0:1], v[4:5], v[0:1]
	v_fma_f64 v[4:5], v[176:177], s[20:21], -v[104:105]
	s_mov_b32 s27, 0xbfeb34fa
	v_add_f64 v[182:183], v[40:41], v[52:53]
	v_mul_f64 v[106:107], v[244:245], s[42:43]
	v_add_f64 v[240:241], v[40:41], -v[52:53]
	s_mov_b32 s48, 0xacd6c6b4
	v_add_f64 v[2:3], v[4:5], v[2:3]
	v_fma_f64 v[4:5], s[26:27], v[182:183], v[106:107]
	v_add_f64 v[186:187], v[42:43], v[54:55]
	v_mul_f64 v[108:109], v[240:241], s[42:43]
	s_mov_b32 s34, 0x7faef3
	s_mov_b32 s49, 0x3fc7851a
	s_mov_b32 s45, 0xbfc7851a
	s_mov_b32 s44, s48
	v_add_f64 v[120:121], v[46:47], -v[50:51]
	v_add_f64 v[0:1], v[4:5], v[0:1]
	v_fma_f64 v[4:5], v[186:187], s[26:27], -v[108:109]
	s_mov_b32 s35, 0xbfef7484
	v_add_f64 v[192:193], v[44:45], v[48:49]
	v_mul_f64 v[110:111], v[120:121], s[44:45]
	v_add_f64 v[2:3], v[4:5], v[2:3]
	v_fma_f64 v[4:5], s[34:35], v[192:193], v[110:111]
	v_add_f64 v[254:255], v[44:45], -v[48:49]
	v_add_f64 v[178:179], v[4:5], v[0:1]
	v_add_f64 v[204:205], v[46:47], v[50:51]
	v_mul_f64 v[0:1], v[254:255], s[44:45]
	v_fma_f64 v[4:5], v[204:205], s[34:35], -v[0:1]
	v_mul_f64 v[142:143], v[112:113], s[22:23]
	v_add_f64 v[180:181], v[4:5], v[2:3]
	v_fma_f64 v[4:5], s[10:11], v[138:139], v[142:143]
	v_mul_f64 v[144:145], v[114:115], s[28:29]
	v_add_f64 v[4:5], v[12:13], v[4:5]
	v_fma_f64 v[6:7], s[14:15], v[146:147], v[144:145]
	v_mul_f64 v[190:191], v[116:117], s[22:23]
	v_add_f64 v[4:5], v[6:7], v[4:5]
	v_fma_f64 v[6:7], v[140:141], s[10:11], -v[190:191]
	v_mul_f64 v[194:195], v[118:119], s[28:29]
	v_add_f64 v[6:7], v[14:15], v[6:7]
	v_fma_f64 v[8:9], v[148:149], s[14:15], -v[194:195]
	v_mul_f64 v[162:163], v[218:219], s[40:41]
	v_add_f64 v[6:7], v[8:9], v[6:7]
	v_fma_f64 v[8:9], s[20:21], v[152:153], v[162:163]
	v_mul_f64 v[200:201], v[198:199], s[40:41]
	v_add_f64 v[4:5], v[8:9], v[4:5]
	v_fma_f64 v[8:9], v[154:155], s[20:21], -v[200:201]
	v_mul_f64 v[166:167], v[224:225], s[44:45]
	v_add_f64 v[6:7], v[8:9], v[6:7]
	v_fma_f64 v[8:9], s[34:35], v[158:159], v[166:167]
	;; [unrolled: 6-line block ×4, first 2 shown]
	v_mul_f64 v[216:217], v[230:231], s[36:37]
	s_mov_b32 s55, 0x3feca52d
	s_mov_b32 s54, s24
	v_add_f64 v[4:5], v[8:9], v[4:5]
	v_fma_f64 v[8:9], v[176:177], s[18:19], -v[216:217]
	v_mul_f64 v[206:207], v[244:245], s[54:55]
	v_add_f64 v[6:7], v[8:9], v[6:7]
	v_fma_f64 v[8:9], s[6:7], v[182:183], v[206:207]
	v_mul_f64 v[220:221], v[240:241], s[54:55]
	s_mov_b32 s51, 0x3fd71e95
	s_mov_b32 s50, s30
	v_add_f64 v[4:5], v[8:9], v[4:5]
	v_fma_f64 v[8:9], v[186:187], s[6:7], -v[220:221]
	v_mul_f64 v[210:211], v[120:121], s[50:51]
	v_add_f64 v[6:7], v[8:9], v[6:7]
	v_fma_f64 v[8:9], s[0:1], v[192:193], v[210:211]
	v_mul_f64 v[222:223], v[254:255], s[50:51]
	v_add_f64 v[2:3], v[8:9], v[4:5]
	v_fma_f64 v[8:9], v[204:205], s[0:1], -v[222:223]
	v_mul_f64 v[232:233], v[112:113], s[24:25]
	v_add_f64 v[4:5], v[8:9], v[6:7]
	v_fma_f64 v[8:9], s[6:7], v[138:139], v[232:233]
	v_mul_f64 v[236:237], v[114:115], s[40:41]
	v_add_f64 v[8:9], v[12:13], v[8:9]
	v_fma_f64 v[10:11], s[20:21], v[146:147], v[236:237]
	v_mul_f64 v[252:253], v[116:117], s[24:25]
	v_add_f64 v[8:9], v[10:11], v[8:9]
	v_fma_f64 v[10:11], v[140:141], s[6:7], -v[252:253]
	v_mul_f64 v[124:125], v[118:119], s[40:41]
	v_add_f64 v[10:11], v[14:15], v[10:11]
	v_fma_f64 v[80:81], v[148:149], s[20:21], -v[124:125]
	v_mul_f64 v[238:239], v[218:219], s[48:49]
	v_add_f64 v[10:11], v[80:81], v[10:11]
	v_fma_f64 v[80:81], s[34:35], v[152:153], v[238:239]
	v_mul_f64 v[126:127], v[198:199], s[48:49]
	v_add_f64 v[8:9], v[80:81], v[8:9]
	v_fma_f64 v[80:81], v[154:155], s[34:35], -v[126:127]
	v_mul_f64 v[242:243], v[224:225], s[36:37]
	v_add_f64 v[10:11], v[80:81], v[10:11]
	v_fma_f64 v[80:81], s[18:19], v[158:159], v[242:243]
	v_mul_f64 v[128:129], v[214:215], s[36:37]
	s_mov_b32 s53, 0x3fe58eea
	s_mov_b32 s52, s22
	v_add_f64 v[8:9], v[80:81], v[8:9]
	v_fma_f64 v[80:81], v[160:161], s[18:19], -v[128:129]
	v_mul_f64 v[246:247], v[228:229], s[52:53]
	v_add_f64 v[10:11], v[80:81], v[10:11]
	v_fma_f64 v[80:81], s[10:11], v[164:165], v[246:247]
	v_mul_f64 v[130:131], v[226:227], s[52:53]
	v_add_f64 v[8:9], v[80:81], v[8:9]
	v_fma_f64 v[80:81], v[168:169], s[10:11], -v[130:131]
	v_mul_f64 v[248:249], v[234:235], s[30:31]
	v_add_f64 v[10:11], v[80:81], v[10:11]
	v_fma_f64 v[80:81], s[0:1], v[174:175], v[248:249]
	v_mul_f64 v[132:133], v[230:231], s[30:31]
	;; [unrolled: 6-line block ×4, first 2 shown]
	v_add_f64 v[6:7], v[80:81], v[8:9]
	v_fma_f64 v[80:81], v[204:205], s[26:27], -v[136:137]
	v_add_f64 v[8:9], v[80:81], v[10:11]
	s_waitcnt lgkmcnt(0)
	; wave barrier
	s_and_saveexec_b64 s[16:17], vcc
	s_cbranch_execz .LBB0_7
; %bb.6:
	v_accvgpr_write_b32 a20, v88
	v_accvgpr_write_b32 a8, v86
	;; [unrolled: 1-line block ×3, first 2 shown]
	v_mul_f64 v[88:89], v[140:141], s[34:35]
	v_accvgpr_write_b32 a16, v82
	v_accvgpr_write_b32 a10, v84
	;; [unrolled: 1-line block ×3, first 2 shown]
	v_mul_f64 v[86:87], v[148:149], s[0:1]
	v_accvgpr_write_b32 a17, v83
	v_fma_f64 v[82:83], s[48:49], v[116:117], v[88:89]
	v_accvgpr_write_b32 a11, v85
	v_mul_f64 v[84:85], v[154:155], s[26:27]
	v_fma_f64 v[80:81], s[30:31], v[118:119], v[86:87]
	v_add_f64 v[82:83], v[14:15], v[82:83]
	v_accvgpr_write_b32 a18, v90
	v_add_f64 v[80:81], v[80:81], v[82:83]
	v_fma_f64 v[82:83], s[46:47], v[198:199], v[84:85]
	v_accvgpr_write_b32 a19, v91
	v_mul_f64 v[90:91], v[160:161], s[10:11]
	v_accvgpr_write_b32 a28, v92
	v_add_f64 v[80:81], v[82:83], v[80:81]
	v_fma_f64 v[82:83], s[22:23], v[214:215], v[90:91]
	s_mov_b32 s57, 0x3fe9895b
	s_mov_b32 s56, s40
	v_accvgpr_write_b32 a29, v93
	v_mul_f64 v[92:93], v[168:169], s[20:21]
	v_accvgpr_write_b32 a22, v94
	v_add_f64 v[80:81], v[82:83], v[80:81]
	v_fma_f64 v[82:83], s[56:57], v[226:227], v[92:93]
	v_accvgpr_write_b32 a23, v95
	v_mul_f64 v[94:95], v[176:177], s[6:7]
	v_accvgpr_write_b32 a30, v96
	v_add_f64 v[80:81], v[82:83], v[80:81]
	v_fma_f64 v[82:83], s[24:25], v[230:231], v[94:95]
	;; [unrolled: 5-line block ×4, first 2 shown]
	v_accvgpr_write_b32 a41, v101
	v_mul_f64 v[100:101], v[114:115], s[50:51]
	v_accvgpr_write_b32 a34, v102
	v_add_f64 v[82:83], v[12:13], v[82:83]
	v_accvgpr_write_b32 a35, v103
	v_fma_f64 v[102:103], s[0:1], v[146:147], v[100:101]
	v_add_f64 v[82:83], v[102:103], v[82:83]
	v_mul_f64 v[102:103], v[218:219], s[42:43]
	v_accvgpr_write_b32 a42, v104
	v_accvgpr_write_b32 a43, v105
	v_fma_f64 v[104:105], s[26:27], v[152:153], v[102:103]
	v_add_f64 v[82:83], v[104:105], v[82:83]
	v_mul_f64 v[104:105], v[224:225], s[52:53]
	v_accvgpr_write_b32 a36, v106
	;; [unrolled: 5-line block ×3, first 2 shown]
	v_accvgpr_write_b32 a45, v109
	v_fma_f64 v[108:109], s[20:21], v[164:165], v[106:107]
	v_fmac_f64_e32 v[88:89], s[44:45], v[116:117]
	v_add_f64 v[82:83], v[108:109], v[82:83]
	v_mul_f64 v[108:109], v[234:235], s[54:55]
	v_accvgpr_write_b32 a38, v110
	v_fmac_f64_e32 v[86:87], s[50:51], v[118:119]
	v_add_f64 v[88:89], v[14:15], v[88:89]
	v_accvgpr_write_b32 a39, v111
	v_fma_f64 v[110:111], s[6:7], v[174:175], v[108:109]
	v_add_f64 v[86:87], v[86:87], v[88:89]
	v_fmac_f64_e32 v[84:85], s[42:43], v[198:199]
	v_fma_f64 v[88:89], v[138:139], s[34:35], -v[98:99]
	v_add_f64 v[82:83], v[110:111], v[82:83]
	v_mul_f64 v[110:111], v[244:245], s[38:39]
	v_accvgpr_write_b32 a48, v142
	v_accvgpr_write_b32 a50, v144
	v_add_f64 v[84:85], v[84:85], v[86:87]
	v_fma_f64 v[86:87], v[146:147], s[0:1], -v[100:101]
	v_add_f64 v[88:89], v[12:13], v[88:89]
	v_accvgpr_write_b32 a49, v143
	v_fma_f64 v[142:143], s[18:19], v[182:183], v[110:111]
	v_accvgpr_write_b32 a51, v145
	v_mul_f64 v[144:145], v[204:205], s[14:15]
	s_mov_b32 s59, 0x3fefdd0d
	s_mov_b32 s58, s28
	v_accvgpr_write_b32 a47, v1
	v_fmac_f64_e32 v[90:91], s[52:53], v[214:215]
	v_add_f64 v[86:87], v[86:87], v[88:89]
	v_fma_f64 v[88:89], v[152:153], s[26:27], -v[102:103]
	v_add_f64 v[142:143], v[142:143], v[82:83]
	v_fma_f64 v[82:83], s[28:29], v[254:255], v[144:145]
	v_accvgpr_write_b32 a46, v0
	v_mov_b32_e32 v0, v150
	v_mov_b32_e32 v1, v151
	v_mul_f64 v[150:151], v[120:121], s[58:59]
	v_add_f64 v[84:85], v[90:91], v[84:85]
	v_fmac_f64_e32 v[92:93], s[40:41], v[226:227]
	v_add_f64 v[86:87], v[88:89], v[86:87]
	v_fma_f64 v[88:89], v[158:159], s[10:11], -v[104:105]
	v_add_f64 v[82:83], v[82:83], v[80:81]
	v_fma_f64 v[80:81], s[14:15], v[192:193], v[150:151]
	v_add_f64 v[84:85], v[92:93], v[84:85]
	v_fmac_f64_e32 v[94:95], s[54:55], v[230:231]
	v_add_f64 v[86:87], v[88:89], v[86:87]
	v_fma_f64 v[88:89], v[164:165], s[20:21], -v[106:107]
	v_add_f64 v[80:81], v[80:81], v[142:143]
	v_add_f64 v[84:85], v[94:95], v[84:85]
	v_fmac_f64_e32 v[96:97], s[38:39], v[240:241]
	v_add_f64 v[86:87], v[88:89], v[86:87]
	v_fma_f64 v[88:89], v[174:175], s[6:7], -v[108:109]
	v_accvgpr_write_b32 a12, v80
	v_add_f64 v[84:85], v[96:97], v[84:85]
	v_add_f64 v[86:87], v[88:89], v[86:87]
	v_fma_f64 v[88:89], v[182:183], s[18:19], -v[110:111]
	v_fmac_f64_e32 v[144:145], s[58:59], v[254:255]
	v_accvgpr_write_b32 a13, v81
	v_accvgpr_write_b32 a14, v82
	;; [unrolled: 1-line block ×3, first 2 shown]
	v_add_f64 v[88:89], v[88:89], v[86:87]
	v_add_f64 v[82:83], v[144:145], v[84:85]
	v_fma_f64 v[84:85], v[192:193], s[14:15], -v[150:151]
	v_mul_f64 v[92:93], v[140:141], s[26:27]
	v_add_f64 v[80:81], v[84:85], v[88:89]
	v_fma_f64 v[88:89], s[46:47], v[116:117], v[92:93]
	v_mul_f64 v[94:95], v[148:149], s[6:7]
	v_add_f64 v[88:89], v[14:15], v[88:89]
	v_fma_f64 v[90:91], s[24:25], v[118:119], v[94:95]
	;; [unrolled: 3-line block ×9, first 2 shown]
	v_add_f64 v[90:91], v[110:111], v[90:91]
	v_mul_f64 v[110:111], v[218:219], s[28:29]
	v_fma_f64 v[142:143], s[14:15], v[152:153], v[110:111]
	v_add_f64 v[90:91], v[142:143], v[90:91]
	v_mul_f64 v[142:143], v[224:225], s[56:57]
	v_fma_f64 v[144:145], s[20:21], v[158:159], v[142:143]
	;; [unrolled: 3-line block ×3, first 2 shown]
	v_accvgpr_write_b32 a24, v80
	v_add_f64 v[90:91], v[150:151], v[90:91]
	v_mul_f64 v[150:151], v[234:235], s[44:45]
	v_accvgpr_write_b32 a25, v81
	v_accvgpr_write_b32 a26, v82
	;; [unrolled: 1-line block ×3, first 2 shown]
	v_fma_f64 v[80:81], s[34:35], v[174:175], v[150:151]
	v_mul_f64 v[82:83], v[244:245], s[52:53]
	v_accvgpr_write_b32 a7, v5
	v_add_f64 v[80:81], v[80:81], v[90:91]
	v_fma_f64 v[90:91], s[10:11], v[182:183], v[82:83]
	v_accvgpr_write_b32 a0, v6
	v_accvgpr_write_b32 a6, v4
	;; [unrolled: 1-line block ×4, first 2 shown]
	v_mov_b32_e32 v2, v156
	v_mul_f64 v[156:157], v[204:205], s[18:19]
	v_add_f64 v[80:81], v[90:91], v[80:81]
	v_accvgpr_write_b32 a1, v7
	v_accvgpr_write_b32 a2, v8
	v_accvgpr_write_b32 a3, v9
	v_fma_f64 v[90:91], s[36:37], v[254:255], v[156:157]
	v_mov_b64_e32 v[8:9], v[162:163]
	v_mul_f64 v[162:163], v[120:121], s[38:39]
	v_add_f64 v[90:91], v[90:91], v[88:89]
	v_fma_f64 v[88:89], s[18:19], v[192:193], v[162:163]
	v_fmac_f64_e32 v[92:93], s[42:43], v[116:117]
	v_add_f64 v[88:89], v[88:89], v[80:81]
	v_fmac_f64_e32 v[94:95], s[54:55], v[118:119]
	v_add_f64 v[80:81], v[14:15], v[92:93]
	v_add_f64 v[80:81], v[94:95], v[80:81]
	v_fma_f64 v[94:95], v[138:139], s[26:27], -v[106:107]
	v_fmac_f64_e32 v[96:97], s[28:29], v[198:199]
	v_fma_f64 v[92:93], v[146:147], s[6:7], -v[108:109]
	v_add_f64 v[94:95], v[12:13], v[94:95]
	v_add_f64 v[80:81], v[96:97], v[80:81]
	v_fmac_f64_e32 v[98:99], s[56:57], v[214:215]
	v_add_f64 v[92:93], v[92:93], v[94:95]
	v_fma_f64 v[94:95], v[152:153], s[14:15], -v[110:111]
	v_add_f64 v[80:81], v[98:99], v[80:81]
	v_fmac_f64_e32 v[100:101], s[30:31], v[226:227]
	v_add_f64 v[92:93], v[94:95], v[92:93]
	v_fma_f64 v[94:95], v[158:159], s[20:21], -v[142:143]
	;; [unrolled: 4-line block ×4, first 2 shown]
	v_add_f64 v[80:81], v[104:105], v[80:81]
	v_add_f64 v[92:93], v[94:95], v[92:93]
	v_fma_f64 v[82:83], v[182:183], s[10:11], -v[82:83]
	v_fmac_f64_e32 v[156:157], s[38:39], v[254:255]
	v_add_f64 v[82:83], v[82:83], v[92:93]
	v_add_f64 v[94:95], v[156:157], v[80:81]
	v_fma_f64 v[80:81], v[192:193], s[18:19], -v[162:163]
	v_add_f64 v[92:93], v[80:81], v[82:83]
	v_mul_f64 v[80:81], v[140:141], s[20:21]
	v_fma_f64 v[82:83], s[56:57], v[116:117], v[80:81]
	v_mul_f64 v[100:101], v[148:149], s[18:19]
	v_add_f64 v[82:83], v[14:15], v[82:83]
	v_fma_f64 v[96:97], s[38:39], v[118:119], v[100:101]
	v_mul_f64 v[102:103], v[154:155], s[0:1]
	v_add_f64 v[82:83], v[96:97], v[82:83]
	;; [unrolled: 3-line block ×11, first 2 shown]
	v_fma_f64 v[98:99], s[14:15], v[164:165], v[162:163]
	v_mov_b64_e32 v[10:11], v[166:167]
	v_mul_f64 v[166:167], v[234:235], s[22:23]
	v_add_f64 v[96:97], v[98:99], v[96:97]
	v_fma_f64 v[98:99], s[10:11], v[174:175], v[166:167]
	v_mul_f64 v[170:171], v[244:245], s[44:45]
	v_mov_b64_e32 v[4:5], v[178:179]
	v_add_f64 v[96:97], v[98:99], v[96:97]
	v_fma_f64 v[98:99], s[34:35], v[182:183], v[170:171]
	v_mov_b64_e32 v[6:7], v[180:181]
	v_mul_f64 v[178:179], v[204:205], s[6:7]
	v_add_f64 v[96:97], v[98:99], v[96:97]
	v_fma_f64 v[98:99], s[24:25], v[254:255], v[178:179]
	v_add_f64 v[98:99], v[98:99], v[82:83]
	v_mul_f64 v[82:83], v[120:121], s[54:55]
	v_fmac_f64_e32 v[80:81], s[40:41], v[116:117]
	v_fma_f64 v[84:85], s[6:7], v[192:193], v[82:83]
	v_fmac_f64_e32 v[100:101], s[36:37], v[118:119]
	v_add_f64 v[80:81], v[14:15], v[80:81]
	v_fma_f64 v[86:87], v[138:139], s[20:21], -v[142:143]
	v_add_f64 v[96:97], v[84:85], v[96:97]
	v_add_f64 v[80:81], v[100:101], v[80:81]
	v_fmac_f64_e32 v[102:103], s[30:31], v[198:199]
	v_fma_f64 v[84:85], v[146:147], s[18:19], -v[144:145]
	v_add_f64 v[86:87], v[12:13], v[86:87]
	v_add_f64 v[80:81], v[102:103], v[80:81]
	v_fmac_f64_e32 v[104:105], s[42:43], v[214:215]
	v_add_f64 v[84:85], v[84:85], v[86:87]
	v_fma_f64 v[86:87], v[152:153], s[0:1], -v[150:151]
	v_add_f64 v[80:81], v[104:105], v[80:81]
	v_fmac_f64_e32 v[106:107], s[58:59], v[226:227]
	v_add_f64 v[84:85], v[86:87], v[84:85]
	v_fma_f64 v[86:87], v[158:159], s[26:27], -v[156:157]
	;; [unrolled: 4-line block ×4, first 2 shown]
	v_add_f64 v[80:81], v[110:111], v[80:81]
	v_add_f64 v[84:85], v[86:87], v[84:85]
	v_fma_f64 v[86:87], v[182:183], s[34:35], -v[170:171]
	v_fmac_f64_e32 v[178:179], s[54:55], v[254:255]
	v_add_f64 v[84:85], v[86:87], v[84:85]
	v_add_f64 v[102:103], v[178:179], v[80:81]
	v_fma_f64 v[80:81], v[192:193], s[6:7], -v[82:83]
	v_add_f64 v[100:101], v[80:81], v[84:85]
	v_mul_f64 v[80:81], v[140:141], s[18:19]
	v_fma_f64 v[82:83], s[36:37], v[116:117], v[80:81]
	v_mul_f64 v[84:85], v[148:149], s[26:27]
	v_add_f64 v[82:83], v[14:15], v[82:83]
	v_fma_f64 v[86:87], s[42:43], v[118:119], v[84:85]
	v_add_f64 v[82:83], v[86:87], v[82:83]
	v_mul_f64 v[86:87], v[154:155], s[10:11]
	v_fma_f64 v[104:105], s[22:23], v[198:199], v[86:87]
	v_mul_f64 v[108:109], v[160:161], s[6:7]
	v_add_f64 v[82:83], v[104:105], v[82:83]
	v_fma_f64 v[104:105], s[54:55], v[214:215], v[108:109]
	v_mul_f64 v[110:111], v[168:169], s[34:35]
	v_add_f64 v[82:83], v[104:105], v[82:83]
	;; [unrolled: 3-line block ×4, first 2 shown]
	v_fma_f64 v[104:105], s[50:51], v[240:241], v[144:145]
	v_mul_f64 v[150:151], v[112:113], s[38:39]
	v_fmac_f64_e32 v[80:81], s[38:39], v[116:117]
	v_add_f64 v[82:83], v[104:105], v[82:83]
	v_fma_f64 v[104:105], s[18:19], v[138:139], v[150:151]
	v_mul_f64 v[156:157], v[114:115], s[46:47]
	v_fmac_f64_e32 v[84:85], s[46:47], v[118:119]
	v_add_f64 v[80:81], v[14:15], v[80:81]
	v_add_f64 v[104:105], v[12:13], v[104:105]
	v_fma_f64 v[106:107], s[26:27], v[146:147], v[156:157]
	v_mul_f64 v[162:163], v[218:219], s[52:53]
	v_add_f64 v[80:81], v[84:85], v[80:81]
	v_fmac_f64_e32 v[86:87], s[52:53], v[198:199]
	v_add_f64 v[104:105], v[106:107], v[104:105]
	v_fma_f64 v[106:107], s[10:11], v[152:153], v[162:163]
	v_mul_f64 v[166:167], v[224:225], s[24:25]
	v_add_f64 v[80:81], v[86:87], v[80:81]
	v_fma_f64 v[86:87], v[138:139], s[18:19], -v[150:151]
	v_add_f64 v[104:105], v[106:107], v[104:105]
	v_fma_f64 v[106:107], s[6:7], v[158:159], v[166:167]
	v_mul_f64 v[170:171], v[228:229], s[44:45]
	v_fma_f64 v[84:85], v[146:147], s[26:27], -v[156:157]
	v_add_f64 v[86:87], v[12:13], v[86:87]
	v_add_f64 v[104:105], v[106:107], v[104:105]
	v_fma_f64 v[106:107], s[34:35], v[164:165], v[170:171]
	v_mul_f64 v[178:179], v[234:235], s[58:59]
	v_fmac_f64_e32 v[108:109], s[24:25], v[214:215]
	v_add_f64 v[84:85], v[84:85], v[86:87]
	v_fma_f64 v[86:87], v[152:153], s[10:11], -v[162:163]
	v_add_f64 v[104:105], v[106:107], v[104:105]
	v_fma_f64 v[106:107], s[14:15], v[174:175], v[178:179]
	v_mul_f64 v[180:181], v[244:245], s[30:31]
	v_add_f64 v[80:81], v[108:109], v[80:81]
	v_fmac_f64_e32 v[110:111], s[44:45], v[226:227]
	v_add_f64 v[84:85], v[86:87], v[84:85]
	v_fma_f64 v[86:87], v[158:159], s[6:7], -v[166:167]
	v_add_f64 v[104:105], v[106:107], v[104:105]
	v_fma_f64 v[106:107], s[0:1], v[182:183], v[180:181]
	v_mul_f64 v[184:185], v[204:205], s[20:21]
	v_add_f64 v[80:81], v[110:111], v[80:81]
	v_fmac_f64_e32 v[142:143], s[58:59], v[230:231]
	v_add_f64 v[84:85], v[86:87], v[84:85]
	v_fma_f64 v[86:87], v[164:165], s[34:35], -v[170:171]
	v_add_f64 v[104:105], v[106:107], v[104:105]
	v_fma_f64 v[106:107], s[56:57], v[254:255], v[184:185]
	v_add_f64 v[80:81], v[142:143], v[80:81]
	v_fmac_f64_e32 v[144:145], s[30:31], v[240:241]
	v_add_f64 v[84:85], v[86:87], v[84:85]
	v_fma_f64 v[86:87], v[174:175], s[14:15], -v[178:179]
	v_add_f64 v[106:107], v[106:107], v[82:83]
	v_mul_f64 v[82:83], v[120:121], s[40:41]
	v_add_f64 v[80:81], v[144:145], v[80:81]
	v_add_f64 v[84:85], v[86:87], v[84:85]
	v_fma_f64 v[86:87], v[182:183], s[0:1], -v[180:181]
	v_fmac_f64_e32 v[184:185], s[40:41], v[254:255]
	v_add_f64 v[84:85], v[86:87], v[84:85]
	v_add_f64 v[110:111], v[184:185], v[80:81]
	v_fma_f64 v[80:81], v[192:193], s[20:21], -v[82:83]
	v_add_f64 v[108:109], v[80:81], v[84:85]
	v_mul_f64 v[80:81], v[140:141], s[14:15]
	v_fma_f64 v[188:189], s[20:21], v[192:193], v[82:83]
	v_fma_f64 v[82:83], s[58:59], v[116:117], v[80:81]
	v_mul_f64 v[84:85], v[148:149], s[34:35]
	v_add_f64 v[82:83], v[14:15], v[82:83]
	v_fma_f64 v[86:87], s[48:49], v[118:119], v[84:85]
	v_add_f64 v[82:83], v[86:87], v[82:83]
	v_mul_f64 v[86:87], v[154:155], s[18:19]
	v_fma_f64 v[142:143], s[38:39], v[198:199], v[86:87]
	v_add_f64 v[82:83], v[142:143], v[82:83]
	v_mul_f64 v[142:143], v[160:161], s[0:1]
	;; [unrolled: 3-line block ×5, first 2 shown]
	v_fma_f64 v[162:163], s[40:41], v[240:241], v[156:157]
	v_mul_f64 v[166:167], v[112:113], s[28:29]
	v_add_f64 v[82:83], v[162:163], v[82:83]
	v_mul_f64 v[162:163], v[114:115], s[44:45]
	v_fma_f64 v[112:113], s[14:15], v[138:139], v[166:167]
	v_add_f64 v[112:113], v[12:13], v[112:113]
	v_fma_f64 v[114:115], s[34:35], v[146:147], v[162:163]
	v_mul_f64 v[170:171], v[218:219], s[36:37]
	v_add_f64 v[112:113], v[114:115], v[112:113]
	v_fma_f64 v[114:115], s[18:19], v[152:153], v[170:171]
	v_mul_f64 v[178:179], v[224:225], s[50:51]
	;; [unrolled: 3-line block ×4, first 2 shown]
	v_add_f64 v[104:105], v[188:189], v[104:105]
	v_add_f64 v[112:113], v[114:115], v[112:113]
	v_fma_f64 v[114:115], s[26:27], v[174:175], v[184:185]
	v_mul_f64 v[188:189], v[244:245], s[56:57]
	v_add_f64 v[112:113], v[114:115], v[112:113]
	v_fma_f64 v[114:115], s[20:21], v[182:183], v[188:189]
	v_mul_f64 v[218:219], v[204:205], s[10:11]
	v_add_f64 v[112:113], v[114:115], v[112:113]
	v_fma_f64 v[114:115], s[22:23], v[254:255], v[218:219]
	v_fmac_f64_e32 v[80:81], s[28:29], v[116:117]
	v_add_f64 v[114:115], v[114:115], v[82:83]
	v_mul_f64 v[82:83], v[120:121], s[52:53]
	v_fmac_f64_e32 v[84:85], s[44:45], v[118:119]
	v_add_f64 v[80:81], v[14:15], v[80:81]
	v_fma_f64 v[120:121], s[10:11], v[192:193], v[82:83]
	v_fmac_f64_e32 v[86:87], s[36:37], v[198:199]
	v_add_f64 v[80:81], v[84:85], v[80:81]
	v_add_f64 v[112:113], v[120:121], v[112:113]
	;; [unrolled: 1-line block ×3, first 2 shown]
	v_fma_f64 v[86:87], v[138:139], s[14:15], -v[166:167]
	v_mul_f64 v[120:121], v[160:161], s[18:19]
	v_fma_f64 v[84:85], v[146:147], s[34:35], -v[162:163]
	v_add_f64 v[86:87], v[12:13], v[86:87]
	v_add_f64 v[120:121], v[128:129], v[120:121]
	v_mul_f64 v[128:129], v[154:155], s[34:35]
	v_fmac_f64_e32 v[142:143], s[50:51], v[214:215]
	v_add_f64 v[84:85], v[84:85], v[86:87]
	v_fma_f64 v[86:87], v[152:153], s[18:19], -v[170:171]
	v_add_f64 v[126:127], v[126:127], v[128:129]
	v_mul_f64 v[128:129], v[148:149], s[20:21]
	v_fmac_f64_e32 v[144:145], s[24:25], v[226:227]
	v_add_f64 v[80:81], v[142:143], v[80:81]
	v_add_f64 v[84:85], v[86:87], v[84:85]
	v_fma_f64 v[86:87], v[158:159], s[0:1], -v[178:179]
	v_add_f64 v[124:125], v[124:125], v[128:129]
	v_mul_f64 v[128:129], v[140:141], s[6:7]
	v_fmac_f64_e32 v[150:151], s[42:43], v[230:231]
	v_add_f64 v[80:81], v[144:145], v[80:81]
	v_add_f64 v[84:85], v[86:87], v[84:85]
	v_fma_f64 v[86:87], v[164:165], s[6:7], -v[180:181]
	v_add_f64 v[128:129], v[252:253], v[128:129]
	v_fmac_f64_e32 v[156:157], s[56:57], v[240:241]
	v_add_f64 v[80:81], v[150:151], v[80:81]
	v_add_f64 v[84:85], v[86:87], v[84:85]
	v_fma_f64 v[86:87], v[174:175], s[26:27], -v[184:185]
	v_add_f64 v[128:129], v[14:15], v[128:129]
	;; [unrolled: 5-line block ×3, first 2 shown]
	v_add_f64 v[84:85], v[86:87], v[84:85]
	v_add_f64 v[118:119], v[218:219], v[80:81]
	v_fma_f64 v[80:81], v[192:193], s[10:11], -v[82:83]
	v_mul_f64 v[86:87], v[168:169], s[10:11]
	v_add_f64 v[124:125], v[126:127], v[124:125]
	v_add_f64 v[116:117], v[80:81], v[84:85]
	v_mul_f64 v[82:83], v[186:187], s[14:15]
	v_mul_f64 v[84:85], v[176:177], s[0:1]
	v_add_f64 v[86:87], v[130:131], v[86:87]
	v_add_f64 v[120:121], v[120:121], v[124:125]
	v_mul_f64 v[80:81], v[204:205], s[26:27]
	v_add_f64 v[82:83], v[134:135], v[82:83]
	v_add_f64 v[84:85], v[132:133], v[84:85]
	;; [unrolled: 3-line block ×3, first 2 shown]
	v_mul_f64 v[132:133], v[138:139], s[0:1]
	v_mul_f64 v[130:131], v[138:139], s[10:11]
	;; [unrolled: 1-line block ×4, first 2 shown]
	v_add_f64 v[84:85], v[84:85], v[86:87]
	v_mul_f64 v[86:87], v[146:147], s[14:15]
	v_mul_f64 v[124:125], v[148:149], s[14:15]
	;; [unrolled: 1-line block ×6, first 2 shown]
	v_add_f64 v[134:135], v[134:135], -v[232:233]
	v_add_f64 v[120:121], v[120:121], -v[236:237]
	v_add_f64 v[134:135], v[12:13], v[134:135]
	v_add_f64 v[152:153], v[152:153], -v[8:9]
	v_accvgpr_read_b32 v8, a50
	v_mul_f64 v[126:127], v[140:141], s[10:11]
	v_mul_f64 v[144:145], v[158:159], s[18:19]
	v_add_f64 v[146:147], v[146:147], -v[238:239]
	v_add_f64 v[120:121], v[120:121], v[134:135]
	v_accvgpr_read_b32 v9, a51
	v_mul_f64 v[142:143], v[164:165], s[10:11]
	v_add_f64 v[144:145], v[144:145], -v[242:243]
	v_add_f64 v[120:121], v[146:147], v[120:121]
	v_add_f64 v[126:127], v[190:191], v[126:127]
	v_add_f64 v[86:87], v[86:87], -v[8:9]
	v_accvgpr_read_b32 v8, a48
	v_mul_f64 v[128:129], v[140:141], s[0:1]
	v_add_f64 v[82:83], v[82:83], v[84:85]
	v_mul_f64 v[84:85], v[192:193], s[26:27]
	v_mul_f64 v[140:141], v[174:175], s[0:1]
	v_add_f64 v[142:143], v[142:143], -v[246:247]
	v_mul_f64 v[150:151], v[154:155], s[6:7]
	v_mul_f64 v[154:155], v[154:155], s[20:21]
	v_add_f64 v[120:121], v[144:145], v[120:121]
	v_add_f64 v[124:125], v[194:195], v[124:125]
	;; [unrolled: 1-line block ×3, first 2 shown]
	v_accvgpr_read_b32 v9, a49
	v_add_f64 v[84:85], v[84:85], -v[122:123]
	v_mul_f64 v[122:123], v[182:183], s[14:15]
	v_add_f64 v[140:141], v[140:141], -v[248:249]
	v_mul_f64 v[134:135], v[160:161], s[14:15]
	v_mul_f64 v[160:161], v[160:161], s[34:35]
	v_add_f64 v[120:121], v[142:143], v[120:121]
	v_add_f64 v[154:155], v[200:201], v[154:155]
	;; [unrolled: 1-line block ×3, first 2 shown]
	v_add_f64 v[130:131], v[130:131], -v[8:9]
	v_add_f64 v[122:123], v[122:123], -v[250:251]
	v_mul_f64 v[146:147], v[164:165], s[18:19]
	v_mul_f64 v[162:163], v[164:165], s[26:27]
	;; [unrolled: 1-line block ×3, first 2 shown]
	v_add_f64 v[120:121], v[140:141], v[120:121]
	v_add_f64 v[160:161], v[208:209], v[160:161]
	;; [unrolled: 1-line block ×4, first 2 shown]
	v_mul_f64 v[156:157], v[158:159], s[14:15]
	v_mul_f64 v[158:159], v[158:159], s[34:35]
	;; [unrolled: 1-line block ×4, first 2 shown]
	v_add_f64 v[120:121], v[122:123], v[120:121]
	v_add_f64 v[164:165], v[212:213], v[164:165]
	;; [unrolled: 1-line block ×5, first 2 shown]
	v_mul_f64 v[84:85], v[186:187], s[6:7]
	v_add_f64 v[168:169], v[216:217], v[168:169]
	v_add_f64 v[124:125], v[164:165], v[124:125]
	v_add_f64 v[158:159], v[158:159], -v[10:11]
	v_add_f64 v[86:87], v[152:153], v[86:87]
	v_mul_f64 v[166:167], v[174:175], s[18:19]
	v_add_f64 v[84:85], v[220:221], v[84:85]
	v_add_f64 v[124:125], v[168:169], v[124:125]
	v_add_f64 v[154:155], v[162:163], -v[196:197]
	v_add_f64 v[86:87], v[158:159], v[86:87]
	v_mul_f64 v[142:143], v[174:175], s[20:21]
	v_add_f64 v[122:123], v[80:81], v[82:83]
	v_mul_f64 v[82:83], v[182:183], s[6:7]
	v_mul_f64 v[174:175], v[204:205], s[0:1]
	v_add_f64 v[84:85], v[84:85], v[124:125]
	v_add_f64 v[124:125], v[166:167], -v[202:203]
	v_add_f64 v[86:87], v[154:155], v[86:87]
	v_add_f64 v[174:175], v[222:223], v[174:175]
	v_mul_f64 v[180:181], v[192:193], s[0:1]
	v_add_f64 v[82:83], v[82:83], -v[206:207]
	v_add_f64 v[86:87], v[124:125], v[86:87]
	v_accvgpr_read_b32 v8, a46
	v_mul_f64 v[178:179], v[204:205], s[34:35]
	v_add_f64 v[126:127], v[174:175], v[84:85]
	v_add_f64 v[84:85], v[180:181], -v[210:211]
	v_add_f64 v[82:83], v[82:83], v[86:87]
	v_accvgpr_read_b32 v9, a47
	v_add_f64 v[124:125], v[84:85], v[82:83]
	v_add_f64 v[82:83], v[8:9], v[178:179]
	v_mov_b64_e32 v[180:181], v[6:7]
	v_mov_b64_e32 v[178:179], v[4:5]
	v_accvgpr_read_b32 v4, a44
	v_mul_f64 v[80:81], v[186:187], s[26:27]
	v_accvgpr_read_b32 v5, a45
	v_add_f64 v[80:81], v[4:5], v[80:81]
	v_accvgpr_read_b32 v4, a42
	v_mul_f64 v[140:141], v[176:177], s[20:21]
	v_accvgpr_read_b32 v5, a43
	v_add_f64 v[84:85], v[4:5], v[140:141]
	v_accvgpr_read_b32 v4, a40
	v_accvgpr_read_b32 v5, a41
	v_add_f64 v[86:87], v[4:5], v[144:145]
	v_accvgpr_read_b32 v4, a30
	v_accvgpr_read_b32 v5, a31
	v_add_f64 v[130:131], v[4:5], v[134:135]
	v_accvgpr_read_b32 v4, a28
	v_accvgpr_read_b32 v5, a29
	v_add_f64 v[134:135], v[4:5], v[150:151]
	v_mov_b32_e32 v151, v1
	v_mov_b32_e32 v150, v0
	v_accvgpr_read_b32 v0, a20
	v_accvgpr_read_b32 v1, a21
	v_add_f64 v[138:139], v[0:1], v[138:139]
	v_accvgpr_read_b32 v0, a10
	v_accvgpr_read_b32 v1, a11
	v_add_f64 v[128:129], v[0:1], v[128:129]
	v_add_f64 v[128:129], v[14:15], v[128:129]
	;; [unrolled: 1-line block ×7, first 2 shown]
	v_accvgpr_read_b32 v0, a38
	v_mul_f64 v[176:177], v[192:193], s[34:35]
	v_add_f64 v[80:81], v[80:81], v[84:85]
	v_accvgpr_read_b32 v1, a39
	v_add_f64 v[130:131], v[82:83], v[80:81]
	v_add_f64 v[80:81], v[176:177], -v[0:1]
	v_accvgpr_read_b32 v0, a36
	v_mul_f64 v[170:171], v[182:183], s[26:27]
	v_accvgpr_read_b32 v1, a37
	v_add_f64 v[82:83], v[170:171], -v[0:1]
	v_accvgpr_read_b32 v0, a34
	v_accvgpr_read_b32 v1, a35
	v_add_f64 v[84:85], v[142:143], -v[0:1]
	v_accvgpr_read_b32 v0, a32
	;; [unrolled: 3-line block ×6, first 2 shown]
	v_accvgpr_read_b32 v1, a17
	v_add_f64 v[132:133], v[132:133], -v[0:1]
	v_add_f64 v[132:133], v[12:13], v[132:133]
	v_add_f64 v[14:15], v[14:15], v[18:19]
	;; [unrolled: 1-line block ×33, first 2 shown]
	v_mov_b32_e32 v156, v2
	v_accvgpr_read_b32 v2, a4
	v_accvgpr_read_b32 v9, a3
	v_add_f64 v[84:85], v[84:85], v[86:87]
	v_add_f64 v[14:15], v[14:15], v[74:75]
	v_add_f64 v[12:13], v[12:13], v[72:73]
	v_mul_lo_u16_e32 v0, 17, v172
	v_accvgpr_read_b32 v3, a5
	v_accvgpr_read_b32 v4, a6
	;; [unrolled: 1-line block ×6, first 2 shown]
	v_add_f64 v[82:83], v[82:83], v[84:85]
	v_add_f64 v[14:15], v[14:15], v[78:79]
	;; [unrolled: 1-line block ×3, first 2 shown]
	v_add_lshl_u32 v0, v151, v0, 4
	v_add_f64 v[128:129], v[80:81], v[82:83]
	ds_write_b128 v0, v[12:15]
	ds_write_b128 v0, v[128:131] offset:16
	ds_write_b128 v0, v[124:127] offset:32
	ds_write_b128 v0, v[120:123] offset:48
	ds_write_b128 v0, v[116:119] offset:64
	ds_write_b128 v0, v[108:111] offset:80
	ds_write_b128 v0, v[100:103] offset:96
	ds_write_b128 v0, v[92:95] offset:112
	ds_write_b128 v0, a[24:27] offset:128
	ds_write_b128 v0, a[12:15] offset:144
	ds_write_b128 v0, v[88:91] offset:160
	ds_write_b128 v0, v[96:99] offset:176
	ds_write_b128 v0, v[104:107] offset:192
	ds_write_b128 v0, v[112:115] offset:208
	ds_write_b128 v0, a[0:3] offset:224
	ds_write_b128 v0, a[4:7] offset:240
	ds_write_b128 v0, v[178:181] offset:256
.LBB0_7:
	s_or_b64 exec, exec, s[16:17]
	v_mul_u32_u24_e32 v0, 6, v172
	v_lshlrev_b32_e32 v44, 4, v0
	s_load_dwordx4 s[0:3], s[2:3], 0x0
	s_waitcnt lgkmcnt(0)
	; wave barrier
	s_waitcnt lgkmcnt(0)
	global_load_dwordx4 v[24:27], v44, s[4:5]
	global_load_dwordx4 v[20:23], v44, s[4:5] offset:16
	global_load_dwordx4 v[16:19], v44, s[4:5] offset:32
	;; [unrolled: 1-line block ×5, first 2 shown]
	v_add_lshl_u32 v238, v151, v172, 4
	ds_read_b128 v[40:43], v238
	ds_read_b128 v[36:39], v238 offset:272
	ds_read_b128 v[46:49], v238 offset:544
	ds_read_b128 v[50:53], v238 offset:816
	ds_read_b128 v[54:57], v238 offset:1088
	ds_read_b128 v[58:61], v238 offset:1360
	ds_read_b128 v[62:65], v238 offset:1632
	ds_read_b128 v[66:69], v238 offset:1904
	ds_read_b128 v[70:73], v238 offset:2176
	ds_read_b128 v[74:77], v238 offset:2448
	ds_read_b128 v[78:81], v238 offset:2720
	ds_read_b128 v[82:85], v238 offset:2992
	ds_read_b128 v[86:89], v238 offset:3264
	ds_read_b128 v[90:93], v238 offset:3536
	v_mov_b32_e32 v45, 0
	v_lshl_add_u64 v[44:45], s[4:5], 0, v[44:45]
	s_mov_b32 s6, 0x37e14327
	s_mov_b32 s4, 0x36b3c0b5
	;; [unrolled: 1-line block ×20, first 2 shown]
	s_waitcnt lgkmcnt(0)
	; wave barrier
	s_waitcnt lgkmcnt(0)
	v_lshl_add_u32 v239, v172, 4, v156
	s_waitcnt vmcnt(5)
	v_mul_f64 v[94:95], v[48:49], v[26:27]
	v_mul_f64 v[96:97], v[46:47], v[26:27]
	s_waitcnt vmcnt(4)
	v_mul_f64 v[98:99], v[56:57], v[22:23]
	s_waitcnt vmcnt(3)
	v_mul_f64 v[102:103], v[64:65], v[18:19]
	v_mul_f64 v[104:105], v[62:63], v[18:19]
	s_waitcnt vmcnt(1)
	v_mul_f64 v[110:111], v[80:81], v[34:35]
	s_waitcnt vmcnt(0)
	v_mul_f64 v[114:115], v[88:89], v[30:31]
	v_mul_f64 v[100:101], v[54:55], v[22:23]
	;; [unrolled: 1-line block ×7, first 2 shown]
	v_fma_f64 v[46:47], v[46:47], v[24:25], -v[94:95]
	v_fmac_f64_e32 v[96:97], v[48:49], v[24:25]
	v_fma_f64 v[48:49], v[54:55], v[20:21], -v[98:99]
	v_fma_f64 v[54:55], v[62:63], v[16:17], -v[102:103]
	v_fmac_f64_e32 v[104:105], v[64:65], v[16:17]
	v_fma_f64 v[62:63], v[78:79], v[32:33], -v[110:111]
	v_fma_f64 v[64:65], v[86:87], v[28:29], -v[114:115]
	v_mul_f64 v[108:109], v[70:71], v[14:15]
	v_mul_f64 v[120:121], v[50:51], v[26:27]
	;; [unrolled: 1-line block ×6, first 2 shown]
	v_fmac_f64_e32 v[100:101], v[56:57], v[20:21]
	v_fma_f64 v[56:57], v[70:71], v[12:13], -v[106:107]
	v_fmac_f64_e32 v[112:113], v[80:81], v[32:33]
	v_fmac_f64_e32 v[116:117], v[88:89], v[28:29]
	v_fma_f64 v[70:71], v[50:51], v[24:25], -v[118:119]
	v_fmac_f64_e32 v[124:125], v[60:61], v[20:21]
	v_add_f64 v[50:51], v[46:47], v[64:65]
	v_add_f64 v[60:61], v[48:49], v[62:63]
	v_mul_f64 v[128:129], v[66:67], v[18:19]
	v_mul_f64 v[130:131], v[76:77], v[14:15]
	;; [unrolled: 1-line block ×3, first 2 shown]
	v_fmac_f64_e32 v[108:109], v[72:73], v[12:13]
	v_fmac_f64_e32 v[120:121], v[52:53], v[24:25]
	v_fma_f64 v[78:79], v[66:67], v[16:17], -v[126:127]
	v_fmac_f64_e32 v[132:133], v[76:77], v[12:13]
	v_fma_f64 v[76:77], v[82:83], v[32:33], -v[134:135]
	v_add_f64 v[52:53], v[96:97], v[116:117]
	v_add_f64 v[46:47], v[46:47], -v[64:65]
	v_add_f64 v[64:65], v[100:101], v[112:113]
	v_add_f64 v[66:67], v[54:55], v[56:57]
	;; [unrolled: 1-line block ×3, first 2 shown]
	v_fmac_f64_e32 v[128:129], v[68:69], v[16:17]
	v_fmac_f64_e32 v[136:137], v[84:85], v[32:33]
	v_add_f64 v[68:69], v[104:105], v[108:109]
	v_add_f64 v[84:85], v[64:65], v[52:53]
	v_add_f64 v[86:87], v[60:61], -v[50:51]
	v_add_f64 v[50:51], v[50:51], -v[66:67]
	;; [unrolled: 1-line block ×3, first 2 shown]
	v_add_f64 v[66:67], v[66:67], v[82:83]
	v_mul_f64 v[138:139], v[92:93], v[30:31]
	v_add_f64 v[48:49], v[48:49], -v[62:63]
	v_add_f64 v[54:55], v[56:57], -v[54:55]
	;; [unrolled: 1-line block ×5, first 2 shown]
	v_add_f64 v[68:69], v[68:69], v[84:85]
	v_add_f64 v[40:41], v[40:41], v[66:67]
	v_mul_f64 v[140:141], v[90:91], v[30:31]
	v_fma_f64 v[72:73], v[58:59], v[20:21], -v[122:123]
	v_fma_f64 v[80:81], v[90:91], v[28:29], -v[138:139]
	v_add_f64 v[58:59], v[96:97], -v[116:117]
	v_add_f64 v[62:63], v[100:101], -v[112:113]
	;; [unrolled: 1-line block ×3, first 2 shown]
	v_add_f64 v[90:91], v[54:55], v[48:49]
	v_add_f64 v[94:95], v[54:55], -v[48:49]
	v_add_f64 v[48:49], v[48:49], -v[46:47]
	v_add_f64 v[42:43], v[42:43], v[68:69]
	v_mov_b64_e32 v[98:99], v[40:41]
	v_fmac_f64_e32 v[140:141], v[92:93], v[28:29]
	v_add_f64 v[92:93], v[56:57], v[62:63]
	v_add_f64 v[96:97], v[56:57], -v[62:63]
	v_add_f64 v[54:55], v[46:47], -v[54:55]
	;; [unrolled: 1-line block ×3, first 2 shown]
	v_add_f64 v[46:47], v[90:91], v[46:47]
	v_mul_f64 v[50:51], v[50:51], s[6:7]
	v_mul_f64 v[52:53], v[52:53], s[6:7]
	;; [unrolled: 1-line block ×6, first 2 shown]
	v_fmac_f64_e32 v[98:99], s[16:17], v[66:67]
	v_mov_b64_e32 v[66:67], v[42:43]
	v_add_f64 v[56:57], v[58:59], -v[56:57]
	v_add_f64 v[58:59], v[92:93], v[58:59]
	v_mul_f64 v[92:93], v[96:97], s[14:15]
	v_mul_f64 v[96:97], v[62:63], s[10:11]
	v_fmac_f64_e32 v[66:67], s[16:17], v[68:69]
	v_fma_f64 v[68:69], v[86:87], s[18:19], -v[82:83]
	v_fma_f64 v[82:83], v[88:89], s[18:19], -v[84:85]
	;; [unrolled: 1-line block ×3, first 2 shown]
	v_fmac_f64_e32 v[50:51], s[4:5], v[60:61]
	v_fma_f64 v[60:61], v[88:89], s[20:21], -v[52:53]
	v_fmac_f64_e32 v[52:53], s[4:5], v[64:65]
	v_fma_f64 v[64:65], v[48:49], s[10:11], -v[90:91]
	v_fma_f64 v[86:87], v[54:55], s[26:27], -v[94:95]
	v_fmac_f64_e32 v[90:91], s[22:23], v[54:55]
	v_fma_f64 v[62:63], v[62:63], s[10:11], -v[92:93]
	v_fmac_f64_e32 v[92:93], s[22:23], v[56:57]
	v_fma_f64 v[88:89], v[56:57], s[26:27], -v[96:97]
	v_add_f64 v[96:97], v[52:53], v[66:67]
	v_add_f64 v[82:83], v[82:83], v[66:67]
	;; [unrolled: 1-line block ×3, first 2 shown]
	v_fmac_f64_e32 v[64:65], s[24:25], v[46:47]
	v_fmac_f64_e32 v[86:87], s[24:25], v[46:47]
	v_fma_f64 v[74:75], v[74:75], v[12:13], -v[130:131]
	v_add_f64 v[94:95], v[50:51], v[98:99]
	v_add_f64 v[68:69], v[68:69], v[98:99]
	;; [unrolled: 1-line block ×3, first 2 shown]
	v_fmac_f64_e32 v[90:91], s[24:25], v[46:47]
	v_fmac_f64_e32 v[92:93], s[24:25], v[58:59]
	;; [unrolled: 1-line block ×4, first 2 shown]
	v_add_f64 v[52:53], v[66:67], -v[86:87]
	v_add_f64 v[56:57], v[64:65], v[82:83]
	v_add_f64 v[60:61], v[82:83], -v[64:65]
	v_add_f64 v[64:65], v[86:87], v[66:67]
	v_add_f64 v[82:83], v[70:71], v[80:81]
	;; [unrolled: 1-line block ×4, first 2 shown]
	v_add_f64 v[48:49], v[96:97], -v[90:91]
	v_add_f64 v[50:51], v[88:89], v[84:85]
	v_add_f64 v[54:55], v[68:69], -v[62:63]
	v_add_f64 v[58:59], v[62:63], v[68:69]
	v_add_f64 v[62:63], v[84:85], -v[88:89]
	v_add_f64 v[66:67], v[94:95], -v[92:93]
	v_add_f64 v[68:69], v[90:91], v[96:97]
	v_add_f64 v[84:85], v[120:121], v[140:141]
	;; [unrolled: 1-line block ×7, first 2 shown]
	v_add_f64 v[98:99], v[86:87], -v[82:83]
	v_add_f64 v[82:83], v[82:83], -v[90:91]
	;; [unrolled: 1-line block ×3, first 2 shown]
	v_add_f64 v[90:91], v[90:91], v[94:95]
	v_add_f64 v[70:71], v[70:71], -v[80:81]
	v_add_f64 v[80:81], v[120:121], -v[140:141]
	;; [unrolled: 1-line block ×9, first 2 shown]
	v_add_f64 v[92:93], v[92:93], v[96:97]
	v_add_f64 v[36:37], v[36:37], v[90:91]
	;; [unrolled: 1-line block ×4, first 2 shown]
	v_add_f64 v[106:107], v[74:75], -v[72:73]
	v_add_f64 v[108:109], v[78:79], -v[76:77]
	;; [unrolled: 1-line block ×4, first 2 shown]
	v_add_f64 v[38:39], v[38:39], v[92:93]
	v_mov_b64_e32 v[110:111], v[36:37]
	v_add_f64 v[74:75], v[70:71], -v[74:75]
	v_add_f64 v[78:79], v[80:81], -v[78:79]
	v_add_f64 v[70:71], v[102:103], v[70:71]
	v_add_f64 v[80:81], v[104:105], v[80:81]
	v_mul_f64 v[82:83], v[82:83], s[6:7]
	v_mul_f64 v[84:85], v[84:85], s[6:7]
	;; [unrolled: 1-line block ×8, first 2 shown]
	v_fmac_f64_e32 v[110:111], s[16:17], v[90:91]
	v_mov_b64_e32 v[90:91], v[38:39]
	v_fmac_f64_e32 v[90:91], s[16:17], v[92:93]
	v_fma_f64 v[86:87], s[4:5], v[86:87], v[82:83]
	v_fma_f64 v[92:93], v[98:99], s[18:19], -v[94:95]
	v_fma_f64 v[94:95], v[100:101], s[18:19], -v[96:97]
	;; [unrolled: 1-line block ×4, first 2 shown]
	v_fmac_f64_e32 v[84:85], s[4:5], v[88:89]
	v_fma_f64 v[98:99], s[22:23], v[74:75], v[102:103]
	v_fma_f64 v[88:89], v[72:73], s[10:11], -v[102:103]
	v_fma_f64 v[100:101], v[76:77], s[10:11], -v[104:105]
	v_fmac_f64_e32 v[104:105], s[22:23], v[78:79]
	v_fma_f64 v[102:103], v[74:75], s[26:27], -v[106:107]
	v_fma_f64 v[106:107], v[78:79], s[26:27], -v[108:109]
	v_add_f64 v[108:109], v[86:87], v[110:111]
	v_add_f64 v[112:113], v[84:85], v[90:91]
	;; [unrolled: 1-line block ×6, first 2 shown]
	v_fmac_f64_e32 v[98:99], s[24:25], v[70:71]
	v_fmac_f64_e32 v[104:105], s[24:25], v[80:81]
	;; [unrolled: 1-line block ×6, first 2 shown]
	v_add_f64 v[70:71], v[104:105], v[108:109]
	v_add_f64 v[72:73], v[112:113], -v[98:99]
	v_add_f64 v[74:75], v[106:107], v[92:93]
	v_add_f64 v[76:77], v[90:91], -v[102:103]
	v_add_f64 v[78:79], v[84:85], -v[100:101]
	v_add_f64 v[80:81], v[88:89], v[86:87]
	v_add_f64 v[82:83], v[100:101], v[84:85]
	v_add_f64 v[84:85], v[86:87], -v[88:89]
	v_add_f64 v[86:87], v[92:93], -v[106:107]
	v_add_f64 v[88:89], v[102:103], v[90:91]
	v_add_f64 v[90:91], v[108:109], -v[104:105]
	v_add_f64 v[92:93], v[98:99], v[112:113]
	ds_write_b128 v238, v[40:43]
	ds_write_b128 v238, v[46:49] offset:272
	ds_write_b128 v238, v[50:53] offset:544
	;; [unrolled: 1-line block ×13, first 2 shown]
	v_mul_hi_i32_i24_e32 v37, 0xffffffb0, v172
	v_mul_i32_i24_e32 v36, 0xffffffb0, v172
	v_lshl_add_u64 v[64:65], v[44:45], 0, v[36:37]
	s_waitcnt lgkmcnt(0)
	; wave barrier
	s_waitcnt lgkmcnt(0)
	global_load_dwordx4 v[40:43], v[64:65], off offset:1632
	global_load_dwordx4 v[44:47], v[64:65], off offset:1904
	;; [unrolled: 1-line block ×7, first 2 shown]
	ds_read_b128 v[64:67], v238 offset:1904
	ds_read_b128 v[72:75], v238
	ds_read_b128 v[80:83], v238 offset:272
	ds_read_b128 v[68:71], v238 offset:2176
	;; [unrolled: 1-line block ×12, first 2 shown]
	s_waitcnt vmcnt(6) lgkmcnt(13)
	v_mul_f64 v[116:117], v[66:67], v[42:43]
	v_fma_f64 v[116:117], v[64:65], v[40:41], -v[116:117]
	v_mul_f64 v[64:65], v[64:65], v[42:43]
	v_fmac_f64_e32 v[64:65], v[66:67], v[40:41]
	s_waitcnt vmcnt(5) lgkmcnt(10)
	v_mul_f64 v[66:67], v[70:71], v[46:47]
	v_fma_f64 v[118:119], v[68:69], v[44:45], -v[66:67]
	s_waitcnt vmcnt(4) lgkmcnt(9)
	v_mul_f64 v[66:67], v[78:79], v[50:51]
	v_fma_f64 v[126:127], v[76:77], v[48:49], -v[66:67]
	;; [unrolled: 3-line block ×4, first 2 shown]
	s_waitcnt vmcnt(1) lgkmcnt(1)
	v_mul_f64 v[66:67], v[102:103], v[58:59]
	v_mul_f64 v[124:125], v[68:69], v[46:47]
	;; [unrolled: 1-line block ×5, first 2 shown]
	v_fma_f64 v[138:139], v[100:101], v[56:57], -v[66:67]
	v_mul_f64 v[140:141], v[100:101], v[58:59]
	s_waitcnt vmcnt(0) lgkmcnt(0)
	v_mul_f64 v[66:67], v[110:111], v[62:63]
	v_mul_f64 v[144:145], v[108:109], v[62:63]
	v_fmac_f64_e32 v[124:125], v[70:71], v[44:45]
	v_fmac_f64_e32 v[128:129], v[78:79], v[48:49]
	v_fmac_f64_e32 v[132:133], v[86:87], v[146:147]
	v_fmac_f64_e32 v[136:137], v[94:95], v[52:53]
	v_fmac_f64_e32 v[140:141], v[102:103], v[56:57]
	v_fma_f64 v[142:143], v[108:109], v[60:61], -v[66:67]
	v_fmac_f64_e32 v[144:145], v[110:111], v[60:61]
	v_add_f64 v[68:69], v[72:73], -v[116:117]
	v_add_f64 v[70:71], v[74:75], -v[64:65]
	;; [unrolled: 1-line block ×14, first 2 shown]
	v_fma_f64 v[64:65], v[72:73], 2.0, -v[68:69]
	v_fma_f64 v[66:67], v[74:75], 2.0, -v[70:71]
	;; [unrolled: 1-line block ×14, first 2 shown]
	v_add_u32_e32 v128, v173, v156
	ds_write_b128 v239, v[64:67]
	ds_write_b128 v239, v[68:71] offset:1904
	ds_write_b128 v239, v[72:75] offset:272
	;; [unrolled: 1-line block ×13, first 2 shown]
	s_waitcnt lgkmcnt(0)
	; wave barrier
	s_waitcnt lgkmcnt(0)
	s_and_saveexec_b64 s[4:5], vcc
	s_cbranch_execz .LBB0_9
; %bb.8:
	global_load_dwordx4 v[124:127], v173, s[8:9] offset:3808
	ds_read_b128 v[120:123], v239
	s_add_u32 s6, s8, 0xee0
	s_addc_u32 s7, s9, 0
	s_waitcnt vmcnt(0) lgkmcnt(0)
	v_mul_f64 v[130:131], v[122:123], v[126:127]
	v_mul_f64 v[132:133], v[120:121], v[126:127]
	v_fma_f64 v[130:131], v[120:121], v[124:125], -v[130:131]
	v_fmac_f64_e32 v[132:133], v[122:123], v[124:125]
	global_load_dwordx4 v[124:127], v173, s[6:7] offset:224
	ds_read_b128 v[120:123], v239 offset:224
	ds_write_b128 v239, v[130:133]
	s_waitcnt vmcnt(0) lgkmcnt(1)
	v_mul_f64 v[130:131], v[122:123], v[126:127]
	v_mul_f64 v[132:133], v[120:121], v[126:127]
	v_fma_f64 v[130:131], v[120:121], v[124:125], -v[130:131]
	v_fmac_f64_e32 v[132:133], v[122:123], v[124:125]
	global_load_dwordx4 v[124:127], v173, s[6:7] offset:448
	ds_read_b128 v[120:123], v239 offset:448
	ds_write_b128 v239, v[130:133] offset:224
	s_waitcnt vmcnt(0) lgkmcnt(1)
	v_mul_f64 v[130:131], v[122:123], v[126:127]
	v_mul_f64 v[132:133], v[120:121], v[126:127]
	v_fma_f64 v[130:131], v[120:121], v[124:125], -v[130:131]
	v_fmac_f64_e32 v[132:133], v[122:123], v[124:125]
	global_load_dwordx4 v[124:127], v173, s[6:7] offset:672
	ds_read_b128 v[120:123], v239 offset:672
	ds_write_b128 v239, v[130:133] offset:448
	s_waitcnt vmcnt(0) lgkmcnt(1)
	v_mul_f64 v[130:131], v[122:123], v[126:127]
	v_mul_f64 v[132:133], v[120:121], v[126:127]
	v_fma_f64 v[130:131], v[120:121], v[124:125], -v[130:131]
	v_fmac_f64_e32 v[132:133], v[122:123], v[124:125]
	global_load_dwordx4 v[124:127], v173, s[6:7] offset:896
	ds_read_b128 v[120:123], v239 offset:896
	ds_write_b128 v239, v[130:133] offset:672
	s_waitcnt vmcnt(0) lgkmcnt(1)
	v_mul_f64 v[130:131], v[122:123], v[126:127]
	v_mul_f64 v[132:133], v[120:121], v[126:127]
	v_fma_f64 v[130:131], v[120:121], v[124:125], -v[130:131]
	v_fmac_f64_e32 v[132:133], v[122:123], v[124:125]
	global_load_dwordx4 v[124:127], v173, s[6:7] offset:1120
	ds_read_b128 v[120:123], v239 offset:1120
	ds_write_b128 v239, v[130:133] offset:896
	s_waitcnt vmcnt(0) lgkmcnt(1)
	v_mul_f64 v[130:131], v[122:123], v[126:127]
	v_mul_f64 v[132:133], v[120:121], v[126:127]
	v_fma_f64 v[130:131], v[120:121], v[124:125], -v[130:131]
	v_fmac_f64_e32 v[132:133], v[122:123], v[124:125]
	global_load_dwordx4 v[124:127], v173, s[6:7] offset:1344
	ds_read_b128 v[120:123], v239 offset:1344
	ds_write_b128 v239, v[130:133] offset:1120
	s_waitcnt vmcnt(0) lgkmcnt(1)
	v_mul_f64 v[130:131], v[122:123], v[126:127]
	v_mul_f64 v[132:133], v[120:121], v[126:127]
	v_fma_f64 v[130:131], v[120:121], v[124:125], -v[130:131]
	v_fmac_f64_e32 v[132:133], v[122:123], v[124:125]
	global_load_dwordx4 v[124:127], v173, s[6:7] offset:1568
	ds_read_b128 v[120:123], v239 offset:1568
	ds_write_b128 v239, v[130:133] offset:1344
	s_waitcnt vmcnt(0) lgkmcnt(1)
	v_mul_f64 v[130:131], v[122:123], v[126:127]
	v_mul_f64 v[132:133], v[120:121], v[126:127]
	v_fma_f64 v[130:131], v[120:121], v[124:125], -v[130:131]
	v_fmac_f64_e32 v[132:133], v[122:123], v[124:125]
	global_load_dwordx4 v[124:127], v173, s[6:7] offset:1792
	ds_read_b128 v[120:123], v239 offset:1792
	ds_write_b128 v239, v[130:133] offset:1568
	s_waitcnt vmcnt(0) lgkmcnt(1)
	v_mul_f64 v[130:131], v[122:123], v[126:127]
	v_mul_f64 v[132:133], v[120:121], v[126:127]
	v_fma_f64 v[130:131], v[120:121], v[124:125], -v[130:131]
	v_fmac_f64_e32 v[132:133], v[122:123], v[124:125]
	global_load_dwordx4 v[124:127], v173, s[6:7] offset:2016
	ds_read_b128 v[120:123], v239 offset:2016
	ds_write_b128 v239, v[130:133] offset:1792
	s_waitcnt vmcnt(0) lgkmcnt(1)
	v_mul_f64 v[130:131], v[122:123], v[126:127]
	v_mul_f64 v[132:133], v[120:121], v[126:127]
	v_fma_f64 v[130:131], v[120:121], v[124:125], -v[130:131]
	v_fmac_f64_e32 v[132:133], v[122:123], v[124:125]
	global_load_dwordx4 v[124:127], v173, s[6:7] offset:2240
	ds_read_b128 v[120:123], v239 offset:2240
	ds_write_b128 v239, v[130:133] offset:2016
	s_waitcnt vmcnt(0) lgkmcnt(1)
	v_mul_f64 v[130:131], v[122:123], v[126:127]
	v_mul_f64 v[132:133], v[120:121], v[126:127]
	v_fma_f64 v[130:131], v[120:121], v[124:125], -v[130:131]
	v_fmac_f64_e32 v[132:133], v[122:123], v[124:125]
	global_load_dwordx4 v[124:127], v173, s[6:7] offset:2464
	ds_read_b128 v[120:123], v239 offset:2464
	ds_write_b128 v239, v[130:133] offset:2240
	s_waitcnt vmcnt(0) lgkmcnt(1)
	v_mul_f64 v[130:131], v[122:123], v[126:127]
	v_mul_f64 v[132:133], v[120:121], v[126:127]
	v_fma_f64 v[130:131], v[120:121], v[124:125], -v[130:131]
	v_fmac_f64_e32 v[132:133], v[122:123], v[124:125]
	global_load_dwordx4 v[124:127], v173, s[6:7] offset:2688
	ds_read_b128 v[120:123], v239 offset:2688
	ds_write_b128 v239, v[130:133] offset:2464
	s_waitcnt vmcnt(0) lgkmcnt(1)
	v_mul_f64 v[130:131], v[122:123], v[126:127]
	v_mul_f64 v[132:133], v[120:121], v[126:127]
	v_fma_f64 v[130:131], v[120:121], v[124:125], -v[130:131]
	v_fmac_f64_e32 v[132:133], v[122:123], v[124:125]
	global_load_dwordx4 v[124:127], v173, s[6:7] offset:2912
	ds_read_b128 v[120:123], v239 offset:2912
	ds_write_b128 v239, v[130:133] offset:2688
	s_waitcnt vmcnt(0) lgkmcnt(1)
	v_mul_f64 v[130:131], v[122:123], v[126:127]
	v_mul_f64 v[132:133], v[120:121], v[126:127]
	v_fma_f64 v[130:131], v[120:121], v[124:125], -v[130:131]
	v_fmac_f64_e32 v[132:133], v[122:123], v[124:125]
	global_load_dwordx4 v[124:127], v173, s[6:7] offset:3136
	ds_read_b128 v[120:123], v239 offset:3136
	ds_write_b128 v239, v[130:133] offset:2912
	s_waitcnt vmcnt(0) lgkmcnt(1)
	v_mul_f64 v[130:131], v[122:123], v[126:127]
	v_mul_f64 v[132:133], v[120:121], v[126:127]
	v_fma_f64 v[130:131], v[120:121], v[124:125], -v[130:131]
	v_fmac_f64_e32 v[132:133], v[122:123], v[124:125]
	global_load_dwordx4 v[124:127], v173, s[6:7] offset:3360
	ds_read_b128 v[120:123], v239 offset:3360
	ds_write_b128 v239, v[130:133] offset:3136
	s_waitcnt vmcnt(0) lgkmcnt(1)
	v_mul_f64 v[130:131], v[122:123], v[126:127]
	v_mul_f64 v[132:133], v[120:121], v[126:127]
	v_fma_f64 v[130:131], v[120:121], v[124:125], -v[130:131]
	v_fmac_f64_e32 v[132:133], v[122:123], v[124:125]
	global_load_dwordx4 v[124:127], v173, s[6:7] offset:3584
	ds_read_b128 v[120:123], v239 offset:3584
	ds_write_b128 v239, v[130:133] offset:3360
	s_waitcnt vmcnt(0) lgkmcnt(1)
	v_mul_f64 v[130:131], v[122:123], v[126:127]
	v_mul_f64 v[132:133], v[120:121], v[126:127]
	v_fma_f64 v[130:131], v[120:121], v[124:125], -v[130:131]
	v_fmac_f64_e32 v[132:133], v[122:123], v[124:125]
	ds_write_b128 v239, v[130:133] offset:3584
.LBB0_9:
	s_or_b64 exec, exec, s[4:5]
	s_waitcnt lgkmcnt(0)
	; wave barrier
	s_waitcnt lgkmcnt(0)
	s_and_saveexec_b64 s[4:5], vcc
	s_cbranch_execz .LBB0_11
; %bb.10:
	ds_read_b128 v[64:67], v239
	ds_read_b128 v[68:71], v239 offset:224
	ds_read_b128 v[72:75], v239 offset:448
	;; [unrolled: 1-line block ×16, first 2 shown]
.LBB0_11:
	s_or_b64 exec, exec, s[4:5]
	v_add_u32_e32 v124, 0x220, v128
	v_add_u32_e32 v123, 0x330, v128
	v_add_u32_e32 v122, 0x440, v128
	v_add_u32_e32 v121, 0x550, v128
	v_add_u32_e32 v120, 0x660, v128
	s_waitcnt lgkmcnt(0)
	; wave barrier
	s_waitcnt lgkmcnt(0)
	s_and_saveexec_b64 s[4:5], vcc
	s_cbranch_execz .LBB0_13
; %bb.12:
	v_accvgpr_write_b32 a4, v40
	v_accvgpr_write_b32 a5, v41
	;; [unrolled: 1-line block ×4, first 2 shown]
	v_mov_b64_e32 v[40:41], v[178:179]
	s_mov_b32 s34, 0xacd6c6b4
	v_mov_b64_e32 v[42:43], v[180:181]
	s_mov_b32 s38, 0x5d8e7cdc
	v_accvgpr_write_b32 a16, v146
	v_add_f64 v[220:221], v[68:69], -v[40:41]
	s_mov_b32 s35, 0xbfc7851a
	s_mov_b32 s28, 0x7faef3
	;; [unrolled: 1-line block ×3, first 2 shown]
	v_add_f64 v[218:219], v[72:73], -v[2:3]
	s_mov_b32 s39, 0x3fd71e95
	s_mov_b32 s24, 0x370991
	v_accvgpr_write_b32 a17, v147
	v_accvgpr_write_b32 a18, v148
	;; [unrolled: 1-line block ×3, first 2 shown]
	v_mul_f64 v[148:149], v[220:221], s[34:35]
	v_add_f64 v[196:197], v[70:71], v[42:43]
	s_mov_b32 s29, 0xbfef7484
	v_add_f64 v[236:237], v[70:71], -v[42:43]
	s_mov_b32 s44, 0x2a9d6da3
	v_add_f64 v[210:211], v[76:77], -v[6:7]
	s_mov_b32 s31, 0xbfe0d888
	s_mov_b32 s22, 0x910ea3b9
	v_mul_f64 v[144:145], v[218:219], s[38:39]
	v_add_f64 v[192:193], v[74:75], v[4:5]
	s_mov_b32 s25, 0x3fedd6d0
	v_accvgpr_write_b32 a2, v150
	v_accvgpr_write_b32 a3, v151
	v_fma_f64 v[150:151], s[28:29], v[196:197], v[148:149]
	v_add_f64 v[234:235], v[74:75], -v[4:5]
	v_add_f64 v[216:217], v[68:69], v[40:41]
	v_mul_f64 v[166:167], v[236:237], s[34:35]
	s_mov_b32 s26, 0x6c9a05f6
	v_add_f64 v[198:199], v[80:81], -v[116:117]
	s_mov_b32 s45, 0x3fe58eea
	s_mov_b32 s18, 0x75d4884
	v_mul_f64 v[140:141], v[210:211], s[30:31]
	v_add_f64 v[188:189], v[78:79], v[8:9]
	s_mov_b32 s23, 0xbfeb34fa
	v_fma_f64 v[146:147], s[24:25], v[192:193], v[144:145]
	v_add_f64 v[150:151], v[66:67], v[150:151]
	v_add_f64 v[232:233], v[78:79], -v[8:9]
	v_add_f64 v[214:215], v[72:73], v[2:3]
	v_mul_f64 v[162:163], v[234:235], s[38:39]
	v_fma_f64 v[168:169], v[216:217], s[28:29], -v[166:167]
	s_mov_b32 s36, 0x7c9e640b
	v_add_f64 v[194:195], v[84:85], -v[112:113]
	s_mov_b32 s27, 0xbfe9895b
	s_mov_b32 s16, 0x6ed5f1bb
	v_mul_f64 v[136:137], v[198:199], s[44:45]
	v_add_f64 v[184:185], v[82:83], v[118:119]
	s_mov_b32 s19, 0x3fe7a5f6
	v_fma_f64 v[142:143], s[22:23], v[188:189], v[140:141]
	v_add_f64 v[146:147], v[146:147], v[150:151]
	v_add_f64 v[230:231], v[82:83], -v[118:119]
	v_add_f64 v[212:213], v[76:77], v[6:7]
	v_mul_f64 v[158:159], v[232:233], s[30:31]
	v_fma_f64 v[164:165], v[214:215], s[24:25], -v[162:163]
	v_add_f64 v[168:169], v[64:65], v[168:169]
	s_mov_b32 s20, 0x923c349f
	v_add_f64 v[190:191], v[88:89], -v[108:109]
	s_mov_b32 s37, 0x3feca52d
	s_mov_b32 s14, 0x2b2883cd
	v_mul_f64 v[132:133], v[194:195], s[26:27]
	v_add_f64 v[180:181], v[86:87], v[114:115]
	s_mov_b32 s17, 0xbfe348c8
	v_fma_f64 v[138:139], s[18:19], v[184:185], v[136:137]
	v_add_f64 v[142:143], v[142:143], v[146:147]
	v_add_f64 v[228:229], v[86:87], -v[114:115]
	v_add_f64 v[208:209], v[80:81], v[116:117]
	v_mul_f64 v[154:155], v[230:231], s[44:45]
	v_fma_f64 v[160:161], v[212:213], s[22:23], -v[158:159]
	v_add_f64 v[164:165], v[164:165], v[168:169]
	s_mov_b32 s48, 0xeb564b22
	v_add_f64 v[186:187], v[92:93], -v[104:105]
	s_mov_b32 s21, 0xbfeec746
	s_mov_b32 s10, 0xc61f0d01
	v_mul_f64 v[128:129], v[190:191], s[36:37]
	v_add_f64 v[178:179], v[90:91], v[110:111]
	s_mov_b32 s15, 0x3fdc86fa
	v_fma_f64 v[134:135], s[16:17], v[180:181], v[132:133]
	v_add_f64 v[138:139], v[138:139], v[142:143]
	v_add_f64 v[226:227], v[90:91], -v[110:111]
	v_add_f64 v[206:207], v[84:85], v[112:113]
	v_mul_f64 v[150:151], v[228:229], s[26:27]
	v_accvgpr_write_b32 a25, v156
	v_fma_f64 v[156:157], v[208:209], s[18:19], -v[154:155]
	v_add_f64 v[160:161], v[160:161], v[164:165]
	v_add_f64 v[182:183], v[96:97], -v[100:101]
	s_mov_b32 s49, 0x3fefdd0d
	s_mov_b32 s6, 0x3259b75e
	v_mul_f64 v[126:127], v[186:187], s[20:21]
	v_add_f64 v[176:177], v[94:95], v[106:107]
	s_mov_b32 s11, 0xbfd183b1
	v_fma_f64 v[130:131], s[14:15], v[178:179], v[128:129]
	v_add_f64 v[134:135], v[134:135], v[138:139]
	v_add_f64 v[224:225], v[94:95], -v[106:107]
	v_add_f64 v[204:205], v[88:89], v[108:109]
	v_mul_f64 v[142:143], v[226:227], s[36:37]
	v_fma_f64 v[152:153], v[206:207], s[16:17], -v[150:151]
	v_add_f64 v[156:157], v[156:157], v[160:161]
	v_accvgpr_write_b32 a24, v124
	v_mul_f64 v[124:125], v[182:183], s[48:49]
	v_add_f64 v[174:175], v[98:99], v[102:103]
	s_mov_b32 s7, 0x3fb79ee6
	v_accvgpr_write_b32 a22, v122
	v_accvgpr_write_b32 a23, v123
	v_fma_f64 v[122:123], s[10:11], v[176:177], v[126:127]
	v_add_f64 v[130:131], v[130:131], v[134:135]
	v_add_f64 v[222:223], v[98:99], -v[102:103]
	v_add_f64 v[202:203], v[92:93], v[104:105]
	v_mul_f64 v[134:135], v[224:225], s[20:21]
	v_fma_f64 v[146:147], v[204:205], s[14:15], -v[142:143]
	v_add_f64 v[152:153], v[152:153], v[156:157]
	v_accvgpr_write_b32 a20, v120
	v_accvgpr_write_b32 a21, v121
	v_fma_f64 v[120:121], s[6:7], v[174:175], v[124:125]
	v_add_f64 v[122:123], v[122:123], v[130:131]
	v_add_f64 v[200:201], v[96:97], v[100:101]
	v_mul_f64 v[130:131], v[222:223], s[48:49]
	v_fma_f64 v[138:139], v[202:203], s[10:11], -v[134:135]
	v_add_f64 v[146:147], v[146:147], v[152:153]
	v_add_f64 v[38:39], v[120:121], v[122:123]
	v_fma_f64 v[120:121], v[200:201], s[6:7], -v[130:131]
	v_add_f64 v[138:139], v[138:139], v[146:147]
	v_add_f64 v[36:37], v[120:121], v[138:139]
	v_fma_f64 v[138:139], v[188:189], s[22:23], -v[140:141]
	v_fma_f64 v[140:141], v[192:193], s[24:25], -v[144:145]
	;; [unrolled: 1-line block ×3, first 2 shown]
	v_add_f64 v[144:145], v[66:67], v[144:145]
	v_add_f64 v[140:141], v[140:141], v[144:145]
	v_fma_f64 v[136:137], v[184:185], s[18:19], -v[136:137]
	v_add_f64 v[138:139], v[138:139], v[140:141]
	v_fma_f64 v[132:133], v[180:181], s[16:17], -v[132:133]
	;; [unrolled: 2-line block ×4, first 2 shown]
	v_add_f64 v[128:129], v[128:129], v[132:133]
	v_accvgpr_write_b32 a26, v36
	v_fma_f64 v[124:125], v[174:175], s[6:7], -v[124:125]
	v_add_f64 v[126:127], v[126:127], v[128:129]
	v_fmac_f64_e32 v[166:167], s[28:29], v[216:217]
	v_accvgpr_write_b32 a27, v37
	v_accvgpr_write_b32 a28, v38
	;; [unrolled: 1-line block ×3, first 2 shown]
	v_add_f64 v[38:39], v[124:125], v[126:127]
	v_fmac_f64_e32 v[162:163], s[24:25], v[214:215]
	v_add_f64 v[124:125], v[64:65], v[166:167]
	v_fmac_f64_e32 v[158:159], s[22:23], v[212:213]
	v_add_f64 v[124:125], v[162:163], v[124:125]
	v_mul_f64 v[156:157], v[220:221], s[30:31]
	v_fmac_f64_e32 v[154:155], s[18:19], v[208:209]
	v_add_f64 v[124:125], v[158:159], v[124:125]
	s_mov_b32 s43, 0xbfefdd0d
	s_mov_b32 s42, s48
	v_mul_f64 v[152:153], v[218:219], s[36:37]
	v_fma_f64 v[158:159], s[22:23], v[196:197], v[156:157]
	v_mul_f64 v[248:249], v[236:237], s[30:31]
	v_fmac_f64_e32 v[150:151], s[16:17], v[206:207]
	v_add_f64 v[124:125], v[154:155], v[124:125]
	s_mov_b32 s55, 0x3fe9895b
	s_mov_b32 s54, s26
	v_mul_f64 v[148:149], v[210:211], s[42:43]
	v_fma_f64 v[154:155], s[14:15], v[192:193], v[152:153]
	v_add_f64 v[158:159], v[66:67], v[158:159]
	v_mul_f64 v[170:171], v[234:235], s[36:37]
	v_fma_f64 v[250:251], v[216:217], s[22:23], -v[248:249]
	v_add_f64 v[124:125], v[150:151], v[124:125]
	s_mov_b32 s41, 0xbfd71e95
	s_mov_b32 s40, s38
	v_mul_f64 v[144:145], v[198:199], s[54:55]
	v_fma_f64 v[150:151], s[6:7], v[188:189], v[148:149]
	v_add_f64 v[154:155], v[154:155], v[158:159]
	v_mul_f64 v[166:167], v[232:233], s[42:43]
	v_fma_f64 v[246:247], v[214:215], s[14:15], -v[170:171]
	v_add_f64 v[250:251], v[64:65], v[250:251]
	v_fmac_f64_e32 v[142:143], s[14:15], v[204:205]
	v_mul_f64 v[140:141], v[194:195], s[40:41]
	v_fma_f64 v[146:147], s[16:17], v[184:185], v[144:145]
	v_add_f64 v[150:151], v[150:151], v[154:155]
	v_mul_f64 v[162:163], v[230:231], s[54:55]
	v_fma_f64 v[168:169], v[212:213], s[6:7], -v[166:167]
	v_add_f64 v[246:247], v[246:247], v[250:251]
	v_fmac_f64_e32 v[134:135], s[10:11], v[202:203]
	v_add_f64 v[124:125], v[142:143], v[124:125]
	v_mul_f64 v[136:137], v[190:191], s[34:35]
	v_fma_f64 v[142:143], s[24:25], v[180:181], v[140:141]
	v_add_f64 v[146:147], v[146:147], v[150:151]
	v_mul_f64 v[158:159], v[228:229], s[40:41]
	v_fma_f64 v[164:165], v[208:209], s[16:17], -v[162:163]
	v_add_f64 v[168:169], v[168:169], v[246:247]
	v_fmac_f64_e32 v[130:131], s[6:7], v[200:201]
	v_add_f64 v[124:125], v[134:135], v[124:125]
	v_mul_f64 v[134:135], v[186:187], s[44:45]
	v_fma_f64 v[138:139], s[28:29], v[178:179], v[136:137]
	v_add_f64 v[142:143], v[142:143], v[146:147]
	v_mul_f64 v[150:151], v[226:227], s[34:35]
	v_fma_f64 v[160:161], v[206:207], s[24:25], -v[158:159]
	v_add_f64 v[164:165], v[164:165], v[168:169]
	v_add_f64 v[36:37], v[130:131], v[124:125]
	v_mul_f64 v[132:133], v[182:183], s[20:21]
	v_fma_f64 v[130:131], s[18:19], v[176:177], v[134:135]
	v_add_f64 v[138:139], v[138:139], v[142:143]
	v_mul_f64 v[142:143], v[224:225], s[44:45]
	v_fma_f64 v[154:155], v[204:205], s[28:29], -v[150:151]
	v_add_f64 v[160:161], v[160:161], v[164:165]
	v_accvgpr_write_b32 a30, v36
	v_fma_f64 v[128:129], s[10:11], v[174:175], v[132:133]
	v_add_f64 v[130:131], v[130:131], v[138:139]
	v_mul_f64 v[138:139], v[222:223], s[20:21]
	v_fma_f64 v[146:147], v[202:203], s[18:19], -v[142:143]
	v_add_f64 v[154:155], v[154:155], v[160:161]
	v_accvgpr_write_b32 a31, v37
	v_accvgpr_write_b32 a32, v38
	;; [unrolled: 1-line block ×3, first 2 shown]
	v_add_f64 v[38:39], v[128:129], v[130:131]
	v_fma_f64 v[128:129], v[200:201], s[10:11], -v[138:139]
	v_add_f64 v[146:147], v[146:147], v[154:155]
	v_add_f64 v[36:37], v[128:129], v[146:147]
	v_fma_f64 v[146:147], v[188:189], s[6:7], -v[148:149]
	v_fma_f64 v[148:149], v[192:193], s[14:15], -v[152:153]
	;; [unrolled: 1-line block ×3, first 2 shown]
	v_add_f64 v[152:153], v[66:67], v[152:153]
	v_add_f64 v[148:149], v[148:149], v[152:153]
	v_fma_f64 v[144:145], v[184:185], s[16:17], -v[144:145]
	v_add_f64 v[146:147], v[146:147], v[148:149]
	v_fma_f64 v[140:141], v[180:181], s[24:25], -v[140:141]
	;; [unrolled: 2-line block ×5, first 2 shown]
	v_add_f64 v[134:135], v[134:135], v[136:137]
	v_fmac_f64_e32 v[248:249], s[22:23], v[216:217]
	v_add_f64 v[134:135], v[132:133], v[134:135]
	v_fmac_f64_e32 v[170:171], s[14:15], v[214:215]
	;; [unrolled: 2-line block ×3, first 2 shown]
	v_add_f64 v[132:133], v[170:171], v[132:133]
	s_mov_b32 s53, 0x3feec746
	s_mov_b32 s52, s20
	v_mul_f64 v[164:165], v[220:221], s[26:27]
	v_fmac_f64_e32 v[162:163], s[16:17], v[208:209]
	v_add_f64 v[132:133], v[166:167], v[132:133]
	v_mul_f64 v[160:161], v[218:219], s[52:53]
	v_fma_f64 v[166:167], s[16:17], v[196:197], v[164:165]
	v_mul_f64 v[240:241], v[236:237], s[26:27]
	v_fmac_f64_e32 v[158:159], s[24:25], v[206:207]
	v_add_f64 v[132:133], v[162:163], v[132:133]
	v_mul_f64 v[156:157], v[210:211], s[40:41]
	v_fma_f64 v[162:163], s[10:11], v[192:193], v[160:161]
	v_add_f64 v[166:167], v[66:67], v[166:167]
	v_mul_f64 v[252:253], v[234:235], s[52:53]
	v_fma_f64 v[242:243], v[216:217], s[16:17], -v[240:241]
	v_add_f64 v[132:133], v[158:159], v[132:133]
	v_mul_f64 v[152:153], v[198:199], s[30:31]
	v_fma_f64 v[158:159], s[24:25], v[188:189], v[156:157]
	v_add_f64 v[162:163], v[162:163], v[166:167]
	v_mul_f64 v[248:249], v[232:233], s[40:41]
	v_fma_f64 v[254:255], v[214:215], s[10:11], -v[252:253]
	v_add_f64 v[242:243], v[64:65], v[242:243]
	v_fmac_f64_e32 v[150:151], s[28:29], v[204:205]
	s_mov_b32 s47, 0xbfe58eea
	s_mov_b32 s46, s44
	v_mul_f64 v[148:149], v[194:195], s[48:49]
	v_fma_f64 v[154:155], s[22:23], v[184:185], v[152:153]
	v_add_f64 v[158:159], v[158:159], v[162:163]
	v_mul_f64 v[170:171], v[230:231], s[30:31]
	v_fma_f64 v[250:251], v[212:213], s[24:25], -v[248:249]
	v_add_f64 v[242:243], v[254:255], v[242:243]
	v_fmac_f64_e32 v[142:143], s[18:19], v[202:203]
	v_add_f64 v[132:133], v[150:151], v[132:133]
	v_mul_f64 v[144:145], v[190:191], s[46:47]
	v_fma_f64 v[150:151], s[6:7], v[180:181], v[148:149]
	v_add_f64 v[154:155], v[154:155], v[158:159]
	v_mul_f64 v[166:167], v[228:229], s[48:49]
	v_fma_f64 v[246:247], v[208:209], s[22:23], -v[170:171]
	v_add_f64 v[242:243], v[250:251], v[242:243]
	v_fmac_f64_e32 v[138:139], s[10:11], v[200:201]
	v_add_f64 v[132:133], v[142:143], v[132:133]
	v_mul_f64 v[142:143], v[186:187], s[34:35]
	v_fma_f64 v[146:147], s[18:19], v[178:179], v[144:145]
	v_add_f64 v[150:151], v[150:151], v[154:155]
	v_mul_f64 v[158:159], v[226:227], s[46:47]
	v_fma_f64 v[168:169], v[206:207], s[6:7], -v[166:167]
	v_add_f64 v[242:243], v[246:247], v[242:243]
	v_add_f64 v[132:133], v[138:139], v[132:133]
	v_mul_f64 v[140:141], v[182:183], s[36:37]
	v_fma_f64 v[138:139], s[28:29], v[176:177], v[142:143]
	v_add_f64 v[146:147], v[146:147], v[150:151]
	v_mul_f64 v[150:151], v[224:225], s[34:35]
	v_fma_f64 v[162:163], v[204:205], s[18:19], -v[158:159]
	v_add_f64 v[168:169], v[168:169], v[242:243]
	v_fma_f64 v[136:137], s[14:15], v[174:175], v[140:141]
	v_add_f64 v[138:139], v[138:139], v[146:147]
	v_mul_f64 v[146:147], v[222:223], s[36:37]
	v_fma_f64 v[154:155], v[202:203], s[28:29], -v[150:151]
	v_add_f64 v[162:163], v[162:163], v[168:169]
	v_add_f64 v[138:139], v[136:137], v[138:139]
	v_fma_f64 v[136:137], v[200:201], s[14:15], -v[146:147]
	v_add_f64 v[154:155], v[154:155], v[162:163]
	v_add_f64 v[136:137], v[136:137], v[154:155]
	v_fma_f64 v[154:155], v[188:189], s[24:25], -v[156:157]
	v_fma_f64 v[156:157], v[192:193], s[10:11], -v[160:161]
	;; [unrolled: 1-line block ×3, first 2 shown]
	v_add_f64 v[160:161], v[66:67], v[160:161]
	v_add_f64 v[156:157], v[156:157], v[160:161]
	v_fma_f64 v[152:153], v[184:185], s[22:23], -v[152:153]
	v_add_f64 v[154:155], v[154:155], v[156:157]
	v_fma_f64 v[148:149], v[180:181], s[6:7], -v[148:149]
	v_add_f64 v[152:153], v[152:153], v[154:155]
	v_fma_f64 v[144:145], v[178:179], s[18:19], -v[144:145]
	v_add_f64 v[148:149], v[148:149], v[152:153]
	v_fma_f64 v[142:143], v[176:177], s[28:29], -v[142:143]
	v_add_f64 v[144:145], v[144:145], v[148:149]
	v_fma_f64 v[140:141], v[174:175], s[14:15], -v[140:141]
	v_add_f64 v[142:143], v[142:143], v[144:145]
	v_fmac_f64_e32 v[240:241], s[16:17], v[216:217]
	v_add_f64 v[142:143], v[140:141], v[142:143]
	v_fmac_f64_e32 v[252:253], s[10:11], v[214:215]
	v_add_f64 v[140:141], v[64:65], v[240:241]
	v_accvgpr_write_b32 a8, v44
	v_fmac_f64_e32 v[248:249], s[24:25], v[212:213]
	v_add_f64 v[140:141], v[252:253], v[140:141]
	s_mov_b32 s57, 0x3fe0d888
	s_mov_b32 s56, s30
	v_mul_f64 v[240:241], v[220:221], s[20:21]
	v_accvgpr_write_b32 a9, v45
	v_accvgpr_write_b32 a10, v46
	;; [unrolled: 1-line block ×3, first 2 shown]
	v_mov_b64_e32 v[46:47], v[4:5]
	v_fmac_f64_e32 v[170:171], s[22:23], v[208:209]
	v_add_f64 v[140:141], v[248:249], v[140:141]
	v_mul_f64 v[168:169], v[218:219], s[56:57]
	v_fma_f64 v[242:243], s[10:11], v[196:197], v[240:241]
	v_mov_b64_e32 v[44:45], v[2:3]
	v_mul_f64 v[2:3], v[236:237], s[20:21]
	v_fmac_f64_e32 v[166:167], s[6:7], v[206:207]
	v_add_f64 v[140:141], v[170:171], v[140:141]
	s_mov_b32 s51, 0xbfeca52d
	s_mov_b32 s50, s36
	v_mul_f64 v[164:165], v[210:211], s[44:45]
	v_fma_f64 v[170:171], s[22:23], v[192:193], v[168:169]
	v_add_f64 v[242:243], v[66:67], v[242:243]
	v_mul_f64 v[244:245], v[234:235], s[56:57]
	v_fma_f64 v[120:121], v[216:217], s[10:11], -v[2:3]
	v_add_f64 v[140:141], v[166:167], v[140:141]
	v_mul_f64 v[160:161], v[198:199], s[50:51]
	v_fma_f64 v[166:167], s[18:19], v[188:189], v[164:165]
	v_add_f64 v[170:171], v[170:171], v[242:243]
	v_mul_f64 v[252:253], v[232:233], s[44:45]
	v_fma_f64 v[0:1], v[214:215], s[22:23], -v[244:245]
	v_add_f64 v[120:121], v[64:65], v[120:121]
	v_fmac_f64_e32 v[158:159], s[18:19], v[204:205]
	v_mul_f64 v[156:157], v[194:195], s[34:35]
	v_fma_f64 v[162:163], s[14:15], v[184:185], v[160:161]
	v_add_f64 v[166:167], v[166:167], v[170:171]
	v_mul_f64 v[248:249], v[230:231], s[50:51]
	v_fma_f64 v[254:255], v[212:213], s[18:19], -v[252:253]
	v_add_f64 v[0:1], v[0:1], v[120:121]
	v_fmac_f64_e32 v[150:151], s[28:29], v[202:203]
	v_add_f64 v[140:141], v[158:159], v[140:141]
	v_mul_f64 v[152:153], v[190:191], s[48:49]
	v_fma_f64 v[158:159], s[28:29], v[180:181], v[156:157]
	v_add_f64 v[162:163], v[162:163], v[166:167]
	v_mul_f64 v[242:243], v[228:229], s[34:35]
	v_fma_f64 v[250:251], v[208:209], s[14:15], -v[248:249]
	v_add_f64 v[0:1], v[254:255], v[0:1]
	v_fmac_f64_e32 v[146:147], s[14:15], v[200:201]
	v_add_f64 v[140:141], v[150:151], v[140:141]
	v_mul_f64 v[150:151], v[186:187], s[40:41]
	v_fma_f64 v[154:155], s[6:7], v[178:179], v[152:153]
	v_add_f64 v[158:159], v[158:159], v[162:163]
	v_mul_f64 v[166:167], v[226:227], s[48:49]
	v_fma_f64 v[246:247], v[206:207], s[28:29], -v[242:243]
	v_add_f64 v[0:1], v[250:251], v[0:1]
	v_add_f64 v[140:141], v[146:147], v[140:141]
	v_mul_f64 v[148:149], v[182:183], s[26:27]
	v_fma_f64 v[146:147], s[24:25], v[176:177], v[150:151]
	v_add_f64 v[154:155], v[154:155], v[158:159]
	v_mul_f64 v[158:159], v[224:225], s[40:41]
	v_fma_f64 v[170:171], v[204:205], s[6:7], -v[166:167]
	v_add_f64 v[0:1], v[246:247], v[0:1]
	v_fma_f64 v[144:145], s[16:17], v[174:175], v[148:149]
	v_add_f64 v[146:147], v[146:147], v[154:155]
	v_mul_f64 v[154:155], v[222:223], s[26:27]
	v_fma_f64 v[162:163], v[202:203], s[24:25], -v[158:159]
	v_add_f64 v[0:1], v[170:171], v[0:1]
	v_add_f64 v[146:147], v[144:145], v[146:147]
	v_fma_f64 v[144:145], v[200:201], s[16:17], -v[154:155]
	v_add_f64 v[0:1], v[162:163], v[0:1]
	v_fma_f64 v[120:121], v[176:177], s[24:25], -v[150:151]
	v_fma_f64 v[150:151], v[184:185], s[14:15], -v[160:161]
	v_fma_f64 v[160:161], v[196:197], s[10:11], -v[240:241]
	v_add_f64 v[144:145], v[144:145], v[0:1]
	v_fma_f64 v[0:1], v[174:175], s[16:17], -v[148:149]
	v_fma_f64 v[148:149], v[180:181], s[28:29], -v[156:157]
	;; [unrolled: 4-line block ×3, first 2 shown]
	v_add_f64 v[156:157], v[156:157], v[160:161]
	v_add_f64 v[152:153], v[152:153], v[156:157]
	;; [unrolled: 1-line block ×6, first 2 shown]
	v_fmac_f64_e32 v[2:3], s[10:11], v[216:217]
	v_add_f64 v[150:151], v[0:1], v[120:121]
	v_fmac_f64_e32 v[244:245], s[22:23], v[214:215]
	v_add_f64 v[0:1], v[64:65], v[2:3]
	;; [unrolled: 2-line block ×5, first 2 shown]
	v_mul_f64 v[240:241], v[220:221], s[42:43]
	v_accvgpr_write_b32 a12, v48
	v_add_f64 v[0:1], v[242:243], v[0:1]
	v_mul_f64 v[168:169], v[218:219], s[34:35]
	v_fma_f64 v[242:243], s[6:7], v[196:197], v[240:241]
	v_accvgpr_write_b32 a13, v49
	v_accvgpr_write_b32 a14, v50
	;; [unrolled: 1-line block ×3, first 2 shown]
	v_mov_b64_e32 v[50:51], v[8:9]
	v_fmac_f64_e32 v[166:167], s[6:7], v[204:205]
	v_mul_f64 v[164:165], v[210:211], s[52:53]
	v_fma_f64 v[170:171], s[28:29], v[192:193], v[168:169]
	v_add_f64 v[242:243], v[66:67], v[242:243]
	v_mov_b64_e32 v[48:49], v[6:7]
	v_mul_f64 v[6:7], v[236:237], s[42:43]
	v_fmac_f64_e32 v[158:159], s[24:25], v[202:203]
	v_add_f64 v[0:1], v[166:167], v[0:1]
	v_mul_f64 v[160:161], v[198:199], s[38:39]
	v_fma_f64 v[166:167], s[10:11], v[188:189], v[164:165]
	v_add_f64 v[170:171], v[170:171], v[242:243]
	v_mul_f64 v[254:255], v[234:235], s[34:35]
	v_fma_f64 v[124:125], v[216:217], s[6:7], -v[6:7]
	v_fmac_f64_e32 v[154:155], s[16:17], v[200:201]
	v_add_f64 v[0:1], v[158:159], v[0:1]
	v_mul_f64 v[158:159], v[194:195], s[50:51]
	v_fma_f64 v[162:163], s[24:25], v[184:185], v[160:161]
	v_add_f64 v[166:167], v[166:167], v[170:171]
	v_mul_f64 v[250:251], v[232:233], s[52:53]
	v_fma_f64 v[4:5], v[214:215], s[28:29], -v[254:255]
	v_add_f64 v[124:125], v[64:65], v[124:125]
	v_add_f64 v[148:149], v[154:155], v[0:1]
	v_mul_f64 v[156:157], v[190:191], s[30:31]
	v_fma_f64 v[154:155], s[14:15], v[180:181], v[158:159]
	v_add_f64 v[162:163], v[162:163], v[166:167]
	v_mul_f64 v[246:247], v[230:231], s[38:39]
	v_fma_f64 v[252:253], v[212:213], s[10:11], -v[250:251]
	v_add_f64 v[4:5], v[4:5], v[124:125]
	v_mul_f64 v[120:121], v[186:187], s[54:55]
	v_fma_f64 v[152:153], s[22:23], v[178:179], v[156:157]
	v_add_f64 v[154:155], v[154:155], v[162:163]
	v_mul_f64 v[242:243], v[228:229], s[50:51]
	v_fma_f64 v[248:249], v[208:209], s[24:25], -v[246:247]
	;; [unrolled: 6-line block ×3, first 2 shown]
	v_add_f64 v[4:5], v[248:249], v[4:5]
	v_fma_f64 v[2:3], s[18:19], v[174:175], v[0:1]
	v_add_f64 v[122:123], v[122:123], v[152:153]
	v_mul_f64 v[162:163], v[224:225], s[54:55]
	v_fma_f64 v[170:171], v[204:205], s[22:23], -v[166:167]
	v_add_f64 v[4:5], v[244:245], v[4:5]
	v_add_f64 v[154:155], v[2:3], v[122:123]
	v_mul_f64 v[2:3], v[222:223], s[44:45]
	v_fma_f64 v[152:153], v[202:203], s[16:17], -v[162:163]
	v_add_f64 v[4:5], v[170:171], v[4:5]
	v_fma_f64 v[122:123], v[200:201], s[18:19], -v[2:3]
	v_add_f64 v[4:5], v[152:153], v[4:5]
	v_add_f64 v[152:153], v[122:123], v[4:5]
	v_fma_f64 v[122:123], v[180:181], s[14:15], -v[158:159]
	v_fma_f64 v[158:159], v[196:197], s[6:7], -v[240:241]
	;; [unrolled: 1-line block ×5, first 2 shown]
	v_add_f64 v[158:159], v[66:67], v[158:159]
	v_fma_f64 v[126:127], v[188:189], s[10:11], -v[164:165]
	v_add_f64 v[156:157], v[156:157], v[158:159]
	v_fma_f64 v[124:125], v[184:185], s[24:25], -v[160:161]
	v_add_f64 v[126:127], v[126:127], v[156:157]
	v_add_f64 v[124:125], v[124:125], v[126:127]
	;; [unrolled: 1-line block ×4, first 2 shown]
	v_fma_f64 v[0:1], v[174:175], s[18:19], -v[0:1]
	v_add_f64 v[4:5], v[4:5], v[120:121]
	v_fmac_f64_e32 v[6:7], s[6:7], v[216:217]
	v_add_f64 v[158:159], v[0:1], v[4:5]
	v_fmac_f64_e32 v[254:255], s[28:29], v[214:215]
	v_add_f64 v[0:1], v[64:65], v[6:7]
	v_fmac_f64_e32 v[250:251], s[10:11], v[212:213]
	v_add_f64 v[0:1], v[254:255], v[0:1]
	v_fmac_f64_e32 v[246:247], s[24:25], v[208:209]
	v_add_f64 v[0:1], v[250:251], v[0:1]
	v_fmac_f64_e32 v[242:243], s[14:15], v[206:207]
	v_add_f64 v[0:1], v[246:247], v[0:1]
	v_mul_f64 v[240:241], v[220:221], s[50:51]
	v_fmac_f64_e32 v[166:167], s[22:23], v[204:205]
	v_add_f64 v[0:1], v[242:243], v[0:1]
	s_mov_b32 s49, 0x3fc7851a
	s_mov_b32 s48, s34
	v_mul_f64 v[168:169], v[218:219], s[26:27]
	v_fma_f64 v[242:243], s[14:15], v[196:197], v[240:241]
	v_fmac_f64_e32 v[162:163], s[16:17], v[202:203]
	v_add_f64 v[0:1], v[166:167], v[0:1]
	v_mul_f64 v[166:167], v[210:211], s[48:49]
	v_fma_f64 v[170:171], s[16:17], v[192:193], v[168:169]
	v_add_f64 v[242:243], v[66:67], v[242:243]
	v_mul_f64 v[10:11], v[236:237], s[50:51]
	v_add_f64 v[0:1], v[162:163], v[0:1]
	v_mul_f64 v[164:165], v[198:199], s[52:53]
	v_fma_f64 v[162:163], s[28:29], v[188:189], v[166:167]
	v_add_f64 v[170:171], v[170:171], v[242:243]
	v_mul_f64 v[254:255], v[234:235], s[26:27]
	v_fma_f64 v[128:129], v[216:217], s[14:15], -v[10:11]
	v_mul_f64 v[124:125], v[194:195], s[44:45]
	v_fma_f64 v[160:161], s[10:11], v[184:185], v[164:165]
	v_add_f64 v[162:163], v[162:163], v[170:171]
	v_mul_f64 v[250:251], v[232:233], s[48:49]
	v_fma_f64 v[8:9], v[214:215], s[16:17], -v[254:255]
	v_add_f64 v[128:129], v[64:65], v[128:129]
	v_mul_f64 v[120:121], v[190:191], s[40:41]
	v_fma_f64 v[126:127], s[18:19], v[180:181], v[124:125]
	v_add_f64 v[160:161], v[160:161], v[162:163]
	v_mul_f64 v[246:247], v[230:231], s[52:53]
	v_fma_f64 v[252:253], v[212:213], s[28:29], -v[250:251]
	v_add_f64 v[8:9], v[8:9], v[128:129]
	v_fmac_f64_e32 v[2:3], s[18:19], v[200:201]
	v_mul_f64 v[4:5], v[186:187], s[42:43]
	v_fma_f64 v[122:123], s[24:25], v[178:179], v[120:121]
	v_add_f64 v[126:127], v[126:127], v[160:161]
	v_mul_f64 v[244:245], v[228:229], s[44:45]
	v_fma_f64 v[248:249], v[208:209], s[10:11], -v[246:247]
	v_add_f64 v[8:9], v[252:253], v[8:9]
	v_add_f64 v[156:157], v[2:3], v[0:1]
	v_mul_f64 v[0:1], v[182:183], s[30:31]
	v_fma_f64 v[6:7], s[6:7], v[176:177], v[4:5]
	v_add_f64 v[122:123], v[122:123], v[126:127]
	v_mul_f64 v[242:243], v[226:227], s[40:41]
	v_fma_f64 v[170:171], v[206:207], s[18:19], -v[244:245]
	v_add_f64 v[8:9], v[248:249], v[8:9]
	v_fma_f64 v[2:3], s[22:23], v[174:175], v[0:1]
	v_add_f64 v[6:7], v[6:7], v[122:123]
	v_mul_f64 v[122:123], v[224:225], s[42:43]
	v_fma_f64 v[160:161], v[204:205], s[24:25], -v[242:243]
	v_add_f64 v[8:9], v[170:171], v[8:9]
	v_add_f64 v[162:163], v[2:3], v[6:7]
	v_mul_f64 v[2:3], v[222:223], s[30:31]
	v_fma_f64 v[126:127], v[202:203], s[6:7], -v[122:123]
	v_add_f64 v[8:9], v[160:161], v[8:9]
	v_fma_f64 v[128:129], v[196:197], s[14:15], -v[240:241]
	v_fma_f64 v[6:7], v[200:201], s[22:23], -v[2:3]
	v_add_f64 v[8:9], v[126:127], v[8:9]
	v_fma_f64 v[126:127], v[192:193], s[16:17], -v[168:169]
	v_add_f64 v[128:129], v[66:67], v[128:129]
	v_add_f64 v[160:161], v[6:7], v[8:9]
	v_fma_f64 v[8:9], v[180:181], s[18:19], -v[124:125]
	v_fma_f64 v[124:125], v[188:189], s[28:29], -v[166:167]
	v_add_f64 v[126:127], v[126:127], v[128:129]
	v_fma_f64 v[6:7], v[178:179], s[24:25], -v[120:121]
	v_fma_f64 v[120:121], v[184:185], s[10:11], -v[164:165]
	v_add_f64 v[124:125], v[124:125], v[126:127]
	v_add_f64 v[120:121], v[120:121], v[124:125]
	;; [unrolled: 1-line block ×3, first 2 shown]
	v_fma_f64 v[4:5], v[176:177], s[6:7], -v[4:5]
	v_add_f64 v[6:7], v[6:7], v[8:9]
	v_fma_f64 v[0:1], v[174:175], s[22:23], -v[0:1]
	v_add_f64 v[4:5], v[4:5], v[6:7]
	v_fmac_f64_e32 v[10:11], s[14:15], v[216:217]
	v_add_f64 v[170:171], v[0:1], v[4:5]
	v_fmac_f64_e32 v[254:255], s[16:17], v[214:215]
	;; [unrolled: 2-line block ×6, first 2 shown]
	v_add_f64 v[0:1], v[244:245], v[0:1]
	v_add_f64 v[0:1], v[242:243], v[0:1]
	v_mul_f64 v[242:243], v[220:221], s[46:47]
	v_accvgpr_write_b32 a34, v36
	v_mul_f64 v[240:241], v[218:219], s[42:43]
	v_fma_f64 v[166:167], s[18:19], v[196:197], v[242:243]
	v_accvgpr_write_b32 a35, v37
	v_accvgpr_write_b32 a36, v38
	;; [unrolled: 1-line block ×3, first 2 shown]
	v_mul_f64 v[128:129], v[210:211], s[26:27]
	v_fma_f64 v[164:165], s[6:7], v[192:193], v[240:241]
	v_add_f64 v[166:167], v[66:67], v[166:167]
	v_mul_f64 v[36:37], v[236:237], s[46:47]
	v_mul_f64 v[124:125], v[198:199], s[34:35]
	v_fma_f64 v[130:131], s[16:17], v[188:189], v[128:129]
	v_add_f64 v[164:165], v[164:165], v[166:167]
	v_mul_f64 v[254:255], v[234:235], s[42:43]
	v_fma_f64 v[38:39], v[216:217], s[18:19], -v[36:37]
	v_fmac_f64_e32 v[122:123], s[6:7], v[202:203]
	v_mul_f64 v[120:121], v[194:195], s[56:57]
	v_fma_f64 v[126:127], s[28:29], v[184:185], v[124:125]
	v_add_f64 v[130:131], v[130:131], v[164:165]
	v_mul_f64 v[250:251], v[232:233], s[26:27]
	v_accvgpr_write_b32 a0, v172
	v_accvgpr_write_b32 a1, v173
	v_fma_f64 v[172:173], v[214:215], s[6:7], -v[254:255]
	v_add_f64 v[38:39], v[64:65], v[38:39]
	v_add_f64 v[0:1], v[122:123], v[0:1]
	v_mul_f64 v[8:9], v[190:191], s[52:53]
	v_fma_f64 v[122:123], s[22:23], v[180:181], v[120:121]
	v_add_f64 v[126:127], v[126:127], v[130:131]
	v_mul_f64 v[246:247], v[230:231], s[34:35]
	v_fma_f64 v[252:253], v[212:213], s[16:17], -v[250:251]
	v_add_f64 v[38:39], v[172:173], v[38:39]
	v_fmac_f64_e32 v[2:3], s[22:23], v[200:201]
	v_mul_f64 v[4:5], v[186:187], s[36:37]
	v_fma_f64 v[10:11], s[10:11], v[178:179], v[8:9]
	v_add_f64 v[122:123], v[122:123], v[126:127]
	v_mul_f64 v[244:245], v[228:229], s[56:57]
	v_fma_f64 v[248:249], v[208:209], s[28:29], -v[246:247]
	v_add_f64 v[38:39], v[252:253], v[38:39]
	v_add_f64 v[168:169], v[2:3], v[0:1]
	v_mul_f64 v[0:1], v[182:183], s[38:39]
	v_fma_f64 v[6:7], s[14:15], v[176:177], v[4:5]
	v_add_f64 v[10:11], v[10:11], v[122:123]
	v_mul_f64 v[126:127], v[226:227], s[52:53]
	v_fma_f64 v[164:165], v[206:207], s[22:23], -v[244:245]
	v_add_f64 v[38:39], v[248:249], v[38:39]
	v_fma_f64 v[2:3], s[24:25], v[174:175], v[0:1]
	v_add_f64 v[6:7], v[6:7], v[10:11]
	v_mul_f64 v[10:11], v[224:225], s[36:37]
	v_fma_f64 v[130:131], v[204:205], s[10:11], -v[126:127]
	v_add_f64 v[38:39], v[164:165], v[38:39]
	v_add_f64 v[166:167], v[2:3], v[6:7]
	v_mul_f64 v[2:3], v[222:223], s[38:39]
	v_fma_f64 v[122:123], v[202:203], s[14:15], -v[10:11]
	v_add_f64 v[38:39], v[130:131], v[38:39]
	v_fma_f64 v[6:7], v[200:201], s[24:25], -v[2:3]
	v_add_f64 v[38:39], v[122:123], v[38:39]
	v_add_f64 v[164:165], v[6:7], v[38:39]
	v_fma_f64 v[38:39], v[184:185], s[28:29], -v[124:125]
	v_fma_f64 v[124:125], v[196:197], s[18:19], -v[242:243]
	;; [unrolled: 1-line block ×3, first 2 shown]
	v_add_f64 v[124:125], v[66:67], v[124:125]
	v_fma_f64 v[6:7], v[178:179], s[10:11], -v[8:9]
	v_fma_f64 v[8:9], v[180:181], s[22:23], -v[120:121]
	;; [unrolled: 1-line block ×3, first 2 shown]
	v_add_f64 v[122:123], v[122:123], v[124:125]
	v_add_f64 v[120:121], v[120:121], v[122:123]
	;; [unrolled: 1-line block ×4, first 2 shown]
	v_fma_f64 v[4:5], v[176:177], s[14:15], -v[4:5]
	v_add_f64 v[6:7], v[6:7], v[8:9]
	v_fma_f64 v[0:1], v[174:175], s[24:25], -v[0:1]
	v_add_f64 v[4:5], v[4:5], v[6:7]
	v_fmac_f64_e32 v[36:37], s[18:19], v[216:217]
	v_add_f64 v[248:249], v[0:1], v[4:5]
	v_fmac_f64_e32 v[254:255], s[6:7], v[214:215]
	;; [unrolled: 2-line block ×8, first 2 shown]
	v_add_f64 v[0:1], v[10:11], v[0:1]
	v_mul_f64 v[172:173], v[220:221], s[40:41]
	v_add_f64 v[246:247], v[2:3], v[0:1]
	v_mul_f64 v[0:1], v[182:183], s[34:35]
	v_mul_f64 v[128:129], v[218:219], s[46:47]
	v_fma_f64 v[182:183], s[24:25], v[196:197], v[172:173]
	v_mul_f64 v[124:125], v[210:211], s[50:51]
	v_fma_f64 v[130:131], s[18:19], v[192:193], v[128:129]
	v_add_f64 v[182:183], v[66:67], v[182:183]
	v_mul_f64 v[120:121], v[198:199], s[42:43]
	v_fma_f64 v[126:127], s[14:15], v[188:189], v[124:125]
	v_add_f64 v[130:131], v[130:131], v[182:183]
	;; [unrolled: 3-line block ×5, first 2 shown]
	v_fma_f64 v[6:7], s[22:23], v[176:177], v[4:5]
	v_add_f64 v[10:11], v[10:11], v[38:39]
	v_fma_f64 v[2:3], s[28:29], v[174:175], v[0:1]
	v_add_f64 v[6:7], v[6:7], v[10:11]
	v_add_f64 v[220:221], v[2:3], v[6:7]
	v_mul_f64 v[2:3], v[222:223], s[34:35]
	v_mul_f64 v[222:223], v[236:237], s[40:41]
	;; [unrolled: 1-line block ×4, first 2 shown]
	v_fma_f64 v[224:225], v[216:217], s[24:25], -v[222:223]
	v_mul_f64 v[194:195], v[232:233], s[50:51]
	v_fma_f64 v[218:219], v[214:215], s[18:19], -v[210:211]
	v_add_f64 v[224:225], v[64:65], v[224:225]
	v_mul_f64 v[186:187], v[230:231], s[42:43]
	v_fma_f64 v[198:199], v[212:213], s[14:15], -v[194:195]
	v_add_f64 v[218:219], v[218:219], v[224:225]
	;; [unrolled: 3-line block ×4, first 2 shown]
	v_fma_f64 v[126:127], v[204:205], s[16:17], -v[122:123]
	v_add_f64 v[182:183], v[182:183], v[190:191]
	v_fma_f64 v[38:39], v[202:203], s[22:23], -v[10:11]
	v_add_f64 v[126:127], v[126:127], v[182:183]
	;; [unrolled: 2-line block ×3, first 2 shown]
	v_add_f64 v[218:219], v[6:7], v[38:39]
	v_fma_f64 v[38:39], v[188:189], s[14:15], -v[124:125]
	v_fma_f64 v[124:125], v[196:197], s[24:25], -v[172:173]
	v_fma_f64 v[6:7], v[178:179], s[16:17], -v[8:9]
	v_fma_f64 v[8:9], v[180:181], s[10:11], -v[36:37]
	v_fma_f64 v[36:37], v[184:185], s[6:7], -v[120:121]
	v_fma_f64 v[120:121], v[192:193], s[18:19], -v[128:129]
	v_add_f64 v[124:125], v[66:67], v[124:125]
	v_add_f64 v[120:121], v[120:121], v[124:125]
	;; [unrolled: 1-line block ×5, first 2 shown]
	v_fma_f64 v[4:5], v[176:177], s[22:23], -v[4:5]
	v_add_f64 v[6:7], v[6:7], v[8:9]
	v_fma_f64 v[0:1], v[174:175], s[28:29], -v[0:1]
	v_add_f64 v[4:5], v[4:5], v[6:7]
	v_fmac_f64_e32 v[222:223], s[24:25], v[216:217]
	v_add_f64 v[176:177], v[0:1], v[4:5]
	v_fmac_f64_e32 v[210:211], s[18:19], v[214:215]
	;; [unrolled: 2-line block ×8, first 2 shown]
	v_add_f64 v[0:1], v[10:11], v[0:1]
	v_add_f64 v[174:175], v[2:3], v[0:1]
	;; [unrolled: 1-line block ×31, first 2 shown]
	v_accvgpr_read_b32 v172, a0
	v_add_f64 v[0:1], v[0:1], v[48:49]
	v_add_f64 v[0:1], v[0:1], v[44:45]
	v_mul_lo_u16_e32 v4, 17, v172
	v_accvgpr_read_b32 v5, a25
	v_add_f64 v[0:1], v[0:1], v[40:41]
	v_lshl_add_u32 v4, v4, 4, v5
	v_accvgpr_read_b32 v51, a15
	v_accvgpr_read_b32 v47, a11
	;; [unrolled: 1-line block ×3, first 2 shown]
	ds_write_b128 v4, v[0:3]
	ds_write_b128 v4, v[174:177] offset:16
	ds_write_b128 v4, v[246:249] offset:32
	;; [unrolled: 1-line block ×12, first 2 shown]
	v_accvgpr_read_b32 v149, a19
	v_accvgpr_read_b32 v173, a1
	;; [unrolled: 1-line block ×21, first 2 shown]
	ds_write_b128 v4, v[152:155] offset:208
	ds_write_b128 v4, v[160:163] offset:224
	;; [unrolled: 1-line block ×4, first 2 shown]
.LBB0_13:
	s_or_b64 exec, exec, s[4:5]
	s_waitcnt lgkmcnt(0)
	; wave barrier
	s_waitcnt lgkmcnt(0)
	ds_read_b128 v[4:7], v238
	ds_read_b128 v[0:3], v238 offset:272
	ds_read_b128 v[8:11], v238 offset:544
	;; [unrolled: 1-line block ×13, first 2 shown]
	s_waitcnt lgkmcnt(11)
	v_mul_f64 v[36:37], v[26:27], v[10:11]
	v_fmac_f64_e32 v[36:37], v[24:25], v[8:9]
	v_mul_f64 v[8:9], v[26:27], v[8:9]
	v_fma_f64 v[8:9], v[24:25], v[10:11], -v[8:9]
	s_waitcnt lgkmcnt(9)
	v_mul_f64 v[10:11], v[22:23], v[70:71]
	v_fmac_f64_e32 v[10:11], v[20:21], v[68:69]
	v_mul_f64 v[38:39], v[22:23], v[68:69]
	s_waitcnt lgkmcnt(7)
	v_mul_f64 v[68:69], v[18:19], v[78:79]
	v_fma_f64 v[38:39], v[20:21], v[70:71], -v[38:39]
	v_fmac_f64_e32 v[68:69], v[16:17], v[76:77]
	v_mul_f64 v[70:71], v[18:19], v[76:77]
	s_waitcnt lgkmcnt(5)
	v_mul_f64 v[76:77], v[14:15], v[86:87]
	v_fma_f64 v[70:71], v[16:17], v[78:79], -v[70:71]
	;; [unrolled: 5-line block ×4, first 2 shown]
	v_fmac_f64_e32 v[92:93], v[28:29], v[100:101]
	v_mul_f64 v[94:95], v[30:31], v[100:101]
	v_mul_f64 v[100:101], v[26:27], v[66:67]
	;; [unrolled: 1-line block ×3, first 2 shown]
	v_fmac_f64_e32 v[100:101], v[24:25], v[64:65]
	v_fma_f64 v[64:65], v[24:25], v[66:67], -v[26:27]
	v_mul_f64 v[66:67], v[22:23], v[74:75]
	v_mul_f64 v[22:23], v[22:23], v[72:73]
	v_fmac_f64_e32 v[66:67], v[20:21], v[72:73]
	v_fma_f64 v[72:73], v[20:21], v[74:75], -v[22:23]
	v_mul_f64 v[74:75], v[18:19], v[82:83]
	v_mul_f64 v[18:19], v[18:19], v[80:81]
	;; [unrolled: 4-line block ×4, first 2 shown]
	v_fmac_f64_e32 v[90:91], v[32:33], v[96:97]
	v_fma_f64 v[32:33], v[32:33], v[98:99], -v[12:13]
	s_waitcnt lgkmcnt(0)
	v_mul_f64 v[12:13], v[30:31], v[104:105]
	v_fma_f64 v[94:95], v[28:29], v[102:103], -v[94:95]
	v_fma_f64 v[96:97], v[28:29], v[106:107], -v[12:13]
	v_add_f64 v[12:13], v[36:37], v[92:93]
	v_add_f64 v[18:19], v[10:11], v[84:85]
	v_mul_f64 v[34:35], v[30:31], v[106:107]
	v_add_f64 v[14:15], v[8:9], v[94:95]
	v_add_f64 v[16:17], v[36:37], -v[92:93]
	v_add_f64 v[20:21], v[38:39], v[86:87]
	v_add_f64 v[24:25], v[68:69], v[76:77]
	;; [unrolled: 1-line block ×3, first 2 shown]
	v_fmac_f64_e32 v[34:35], v[28:29], v[104:105]
	v_add_f64 v[22:23], v[38:39], -v[86:87]
	v_add_f64 v[26:27], v[70:71], v[78:79]
	v_add_f64 v[28:29], v[76:77], -v[68:69]
	v_add_f64 v[38:39], v[20:21], v[14:15]
	v_add_f64 v[68:69], v[18:19], -v[12:13]
	v_add_f64 v[12:13], v[12:13], -v[24:25]
	;; [unrolled: 1-line block ×3, first 2 shown]
	v_add_f64 v[24:25], v[24:25], v[36:37]
	v_add_f64 v[8:9], v[8:9], -v[94:95]
	v_add_f64 v[10:11], v[10:11], -v[84:85]
	;; [unrolled: 1-line block ×6, first 2 shown]
	v_add_f64 v[26:27], v[26:27], v[38:39]
	v_add_f64 v[4:5], v[4:5], v[24:25]
	s_mov_b32 s6, 0x37e14327
	s_mov_b32 s4, 0x36b3c0b5
	;; [unrolled: 1-line block ×5, first 2 shown]
	v_add_f64 v[76:77], v[28:29], v[10:11]
	v_add_f64 v[78:79], v[30:31], v[22:23]
	v_add_f64 v[84:85], v[28:29], -v[10:11]
	v_add_f64 v[86:87], v[30:31], -v[22:23]
	;; [unrolled: 1-line block ×3, first 2 shown]
	v_add_f64 v[6:7], v[6:7], v[26:27]
	s_mov_b32 s7, 0x3fe948f6
	s_mov_b32 s5, 0x3fac98ee
	;; [unrolled: 1-line block ×5, first 2 shown]
	v_mov_b64_e32 v[92:93], v[4:5]
	s_mov_b32 s18, 0x5476071b
	s_mov_b32 s22, 0xb247c609
	v_add_f64 v[28:29], v[16:17], -v[28:29]
	v_add_f64 v[30:31], v[8:9], -v[30:31]
	;; [unrolled: 1-line block ×3, first 2 shown]
	v_add_f64 v[16:17], v[76:77], v[16:17]
	v_add_f64 v[8:9], v[78:79], v[8:9]
	v_mul_f64 v[12:13], v[12:13], s[6:7]
	v_mul_f64 v[14:15], v[14:15], s[6:7]
	;; [unrolled: 1-line block ×7, first 2 shown]
	v_fmac_f64_e32 v[92:93], s[16:17], v[24:25]
	v_mov_b64_e32 v[24:25], v[6:7]
	s_mov_b32 s19, 0x3fe77f67
	s_mov_b32 s21, 0xbfe77f67
	;; [unrolled: 1-line block ×7, first 2 shown]
	v_mul_f64 v[84:85], v[10:11], s[10:11]
	v_fmac_f64_e32 v[24:25], s[16:17], v[26:27]
	v_fma_f64 v[26:27], v[68:69], s[18:19], -v[36:37]
	v_fma_f64 v[36:37], v[70:71], s[18:19], -v[38:39]
	v_fma_f64 v[38:39], v[68:69], s[20:21], -v[12:13]
	v_fmac_f64_e32 v[12:13], s[4:5], v[18:19]
	v_fma_f64 v[18:19], v[70:71], s[20:21], -v[14:15]
	v_fmac_f64_e32 v[14:15], s[4:5], v[20:21]
	v_fma_f64 v[68:69], v[10:11], s[10:11], -v[76:77]
	v_fma_f64 v[20:21], v[22:23], s[10:11], -v[78:79]
	v_fmac_f64_e32 v[78:79], s[22:23], v[30:31]
	v_fma_f64 v[30:31], v[30:31], s[26:27], -v[86:87]
	s_mov_b32 s25, 0xbfdc38aa
	v_fmac_f64_e32 v[76:77], s[22:23], v[28:29]
	v_fma_f64 v[28:29], v[28:29], s[26:27], -v[84:85]
	v_add_f64 v[22:23], v[26:27], v[92:93]
	v_add_f64 v[26:27], v[36:37], v[24:25]
	;; [unrolled: 1-line block ×3, first 2 shown]
	v_fmac_f64_e32 v[68:69], s[24:25], v[16:17]
	v_fmac_f64_e32 v[20:21], s[24:25], v[8:9]
	;; [unrolled: 1-line block ×3, first 2 shown]
	v_add_f64 v[70:71], v[12:13], v[92:93]
	v_add_f64 v[84:85], v[14:15], v[24:25]
	;; [unrolled: 1-line block ×3, first 2 shown]
	v_fmac_f64_e32 v[76:77], s[24:25], v[16:17]
	v_fmac_f64_e32 v[78:79], s[24:25], v[8:9]
	;; [unrolled: 1-line block ×3, first 2 shown]
	v_add_f64 v[12:13], v[30:31], v[36:37]
	v_add_f64 v[16:17], v[22:23], -v[20:21]
	v_add_f64 v[18:19], v[68:69], v[26:27]
	v_add_f64 v[20:21], v[20:21], v[22:23]
	v_add_f64 v[22:23], v[26:27], -v[68:69]
	v_add_f64 v[24:25], v[36:37], -v[30:31]
	v_add_f64 v[36:37], v[100:101], v[34:35]
	v_add_f64 v[68:69], v[66:67], v[90:91]
	;; [unrolled: 1-line block ×3, first 2 shown]
	v_add_f64 v[10:11], v[84:85], -v[76:77]
	v_add_f64 v[14:15], v[38:39], -v[28:29]
	v_add_f64 v[26:27], v[28:29], v[38:39]
	v_add_f64 v[28:29], v[70:71], -v[78:79]
	v_add_f64 v[30:31], v[76:77], v[84:85]
	v_add_f64 v[38:39], v[64:65], v[96:97]
	;; [unrolled: 1-line block ×3, first 2 shown]
	v_add_f64 v[32:33], v[72:73], -v[32:33]
	v_add_f64 v[72:73], v[74:75], v[82:83]
	v_add_f64 v[76:77], v[80:81], v[88:89]
	v_add_f64 v[78:79], v[88:89], -v[80:81]
	v_add_f64 v[80:81], v[68:69], v[36:37]
	v_add_f64 v[74:75], v[82:83], -v[74:75]
	;; [unrolled: 2-line block ×3, first 2 shown]
	v_add_f64 v[36:37], v[36:37], -v[72:73]
	v_add_f64 v[68:69], v[72:73], -v[68:69]
	v_add_f64 v[72:73], v[72:73], v[80:81]
	v_add_f64 v[34:35], v[100:101], -v[34:35]
	v_add_f64 v[64:65], v[64:65], -v[96:97]
	;; [unrolled: 1-line block ×6, first 2 shown]
	v_add_f64 v[76:77], v[76:77], v[82:83]
	v_add_f64 v[0:1], v[0:1], v[72:73]
	;; [unrolled: 1-line block ×4, first 2 shown]
	v_add_f64 v[92:93], v[74:75], -v[66:67]
	v_add_f64 v[94:95], v[78:79], -v[32:33]
	;; [unrolled: 1-line block ×4, first 2 shown]
	v_add_f64 v[2:3], v[2:3], v[76:77]
	v_mov_b64_e32 v[96:97], v[0:1]
	v_add_f64 v[74:75], v[34:35], -v[74:75]
	v_add_f64 v[78:79], v[64:65], -v[78:79]
	v_add_f64 v[34:35], v[88:89], v[34:35]
	v_add_f64 v[64:65], v[90:91], v[64:65]
	v_mul_f64 v[36:37], v[36:37], s[6:7]
	v_mul_f64 v[38:39], v[38:39], s[6:7]
	;; [unrolled: 1-line block ×8, first 2 shown]
	v_fmac_f64_e32 v[96:97], s[16:17], v[72:73]
	v_mov_b64_e32 v[72:73], v[2:3]
	v_fmac_f64_e32 v[72:73], s[16:17], v[76:77]
	v_fma_f64 v[68:69], s[4:5], v[68:69], v[36:37]
	v_fma_f64 v[76:77], v[84:85], s[18:19], -v[80:81]
	v_fma_f64 v[80:81], v[86:87], s[18:19], -v[82:83]
	;; [unrolled: 1-line block ×4, first 2 shown]
	v_fmac_f64_e32 v[38:39], s[4:5], v[70:71]
	v_fma_f64 v[84:85], s[22:23], v[74:75], v[88:89]
	v_fma_f64 v[86:87], v[66:67], s[10:11], -v[88:89]
	v_fma_f64 v[88:89], v[32:33], s[10:11], -v[90:91]
	v_fmac_f64_e32 v[90:91], s[22:23], v[78:79]
	v_fma_f64 v[92:93], v[74:75], s[26:27], -v[92:93]
	v_fma_f64 v[78:79], v[78:79], s[26:27], -v[94:95]
	v_add_f64 v[94:95], v[68:69], v[96:97]
	v_add_f64 v[38:39], v[38:39], v[72:73]
	;; [unrolled: 1-line block ×6, first 2 shown]
	v_fmac_f64_e32 v[84:85], s[24:25], v[34:35]
	v_fmac_f64_e32 v[90:91], s[24:25], v[64:65]
	;; [unrolled: 1-line block ×6, first 2 shown]
	v_add_f64 v[32:33], v[90:91], v[94:95]
	v_add_f64 v[34:35], v[38:39], -v[84:85]
	v_add_f64 v[64:65], v[78:79], v[36:37]
	v_add_f64 v[66:67], v[80:81], -v[92:93]
	v_add_f64 v[68:69], v[74:75], -v[88:89]
	v_add_f64 v[70:71], v[86:87], v[76:77]
	v_add_f64 v[72:73], v[88:89], v[74:75]
	v_add_f64 v[74:75], v[76:77], -v[86:87]
	v_add_f64 v[76:77], v[36:37], -v[78:79]
	v_add_f64 v[78:79], v[92:93], v[80:81]
	v_add_f64 v[80:81], v[94:95], -v[90:91]
	v_add_f64 v[82:83], v[84:85], v[38:39]
	s_waitcnt lgkmcnt(0)
	; wave barrier
	ds_write_b128 v238, v[4:7]
	ds_write_b128 v238, v[8:11] offset:272
	ds_write_b128 v238, v[12:15] offset:544
	;; [unrolled: 1-line block ×13, first 2 shown]
	s_waitcnt lgkmcnt(0)
	; wave barrier
	s_waitcnt lgkmcnt(0)
	ds_read_b128 v[0:3], v238 offset:1904
	ds_read_b128 v[4:7], v238
	ds_read_b128 v[8:11], v238 offset:272
	ds_read_b128 v[12:15], v238 offset:2176
	;; [unrolled: 1-line block ×12, first 2 shown]
	s_waitcnt lgkmcnt(13)
	v_mul_f64 v[36:37], v[42:43], v[2:3]
	v_fmac_f64_e32 v[36:37], v[40:41], v[0:1]
	v_mul_f64 v[0:1], v[42:43], v[0:1]
	v_fma_f64 v[2:3], v[40:41], v[2:3], -v[0:1]
	s_waitcnt lgkmcnt(10)
	v_mul_f64 v[0:1], v[46:47], v[12:13]
	v_mul_f64 v[38:39], v[46:47], v[14:15]
	v_fma_f64 v[14:15], v[44:45], v[14:15], -v[0:1]
	s_waitcnt lgkmcnt(9)
	v_mul_f64 v[0:1], v[50:51], v[16:17]
	;; [unrolled: 4-line block ×4, first 2 shown]
	v_fmac_f64_e32 v[38:39], v[44:45], v[12:13]
	v_mul_f64 v[44:45], v[54:55], v[34:35]
	v_fma_f64 v[34:35], v[52:53], v[34:35], -v[0:1]
	s_waitcnt lgkmcnt(1)
	v_mul_f64 v[0:1], v[58:59], v[76:77]
	v_fmac_f64_e32 v[40:41], v[48:49], v[16:17]
	v_mul_f64 v[46:47], v[58:59], v[78:79]
	v_fma_f64 v[48:49], v[56:57], v[78:79], -v[0:1]
	s_waitcnt lgkmcnt(0)
	v_mul_f64 v[50:51], v[62:63], v[82:83]
	v_mul_f64 v[0:1], v[62:63], v[80:81]
	v_fmac_f64_e32 v[42:43], v[146:147], v[28:29]
	v_fmac_f64_e32 v[44:45], v[52:53], v[32:33]
	;; [unrolled: 1-line block ×4, first 2 shown]
	v_fma_f64 v[52:53], v[60:61], v[82:83], -v[0:1]
	v_add_f64 v[0:1], v[4:5], -v[36:37]
	v_add_f64 v[2:3], v[6:7], -v[2:3]
	v_fma_f64 v[4:5], v[4:5], 2.0, -v[0:1]
	v_fma_f64 v[6:7], v[6:7], 2.0, -v[2:3]
	v_add_f64 v[12:13], v[8:9], -v[38:39]
	v_add_f64 v[14:15], v[10:11], -v[14:15]
	;; [unrolled: 1-line block ×12, first 2 shown]
	v_fma_f64 v[8:9], v[8:9], 2.0, -v[12:13]
	v_fma_f64 v[10:11], v[10:11], 2.0, -v[14:15]
	v_fma_f64 v[20:21], v[20:21], 2.0, -v[16:17]
	v_fma_f64 v[22:23], v[22:23], 2.0, -v[18:19]
	v_fma_f64 v[24:25], v[24:25], 2.0, -v[28:29]
	v_fma_f64 v[26:27], v[26:27], 2.0, -v[30:31]
	v_fma_f64 v[36:37], v[64:65], 2.0, -v[32:33]
	v_fma_f64 v[38:39], v[66:67], 2.0, -v[34:35]
	v_fma_f64 v[44:45], v[68:69], 2.0, -v[40:41]
	v_fma_f64 v[46:47], v[70:71], 2.0, -v[42:43]
	v_fma_f64 v[52:53], v[72:73], 2.0, -v[48:49]
	v_fma_f64 v[54:55], v[74:75], 2.0, -v[50:51]
	ds_write_b128 v239, v[4:7]
	ds_write_b128 v239, v[0:3] offset:1904
	ds_write_b128 v239, v[8:11] offset:272
	;; [unrolled: 1-line block ×13, first 2 shown]
	s_waitcnt lgkmcnt(0)
	; wave barrier
	s_waitcnt lgkmcnt(0)
	s_and_b64 exec, exec, vcc
	s_cbranch_execz .LBB0_15
; %bb.14:
	global_load_dwordx4 v[4:7], v173, s[8:9]
	v_mad_u64_u32 v[16:17], s[4:5], s2, v150, 0
	v_mad_u64_u32 v[18:19], s[6:7], s0, v172, 0
	v_lshl_add_u32 v2, v151, 4, v173
	v_mov_b32_e32 v20, v17
	ds_read_b128 v[8:11], v239
	ds_read_b128 v[12:15], v2 offset:224
	v_mov_b32_e32 v22, v19
	v_mad_u64_u32 v[20:21], s[2:3], s3, v150, v[20:21]
	v_mov_b32_e32 v0, s12
	v_mov_b32_e32 v1, s13
	v_mad_u64_u32 v[22:23], s[2:3], s1, v172, v[22:23]
	v_mov_b32_e32 v17, v20
	v_mov_b32_e32 v19, v22
	v_lshl_add_u64 v[0:1], v[16:17], 4, v[0:1]
	s_mov_b32 s4, 0x1135c811
	v_lshl_add_u64 v[16:17], v[18:19], 4, v[0:1]
	s_mov_b32 s5, 0x3f7135c8
	v_mov_b32_e32 v3, 0xe0
	s_mul_i32 s2, s1, 0xe0
	v_or_b32_e32 v21, 0x70, v172
	s_mul_i32 s3, s1, 0x1c0
	s_waitcnt vmcnt(0) lgkmcnt(1)
	v_mul_f64 v[18:19], v[10:11], v[6:7]
	v_mul_f64 v[6:7], v[8:9], v[6:7]
	v_fmac_f64_e32 v[18:19], v[8:9], v[4:5]
	v_fma_f64 v[6:7], v[4:5], v[10:11], -v[6:7]
	v_mul_f64 v[4:5], v[18:19], s[4:5]
	v_mul_f64 v[6:7], v[6:7], s[4:5]
	global_store_dwordx4 v[16:17], v[4:7], off
	global_load_dwordx4 v[4:7], v173, s[8:9] offset:224
	v_mad_u64_u32 v[16:17], s[6:7], s0, v3, v[16:17]
	v_add_u32_e32 v17, s2, v17
	s_waitcnt vmcnt(0) lgkmcnt(0)
	v_mul_f64 v[8:9], v[14:15], v[6:7]
	v_mul_f64 v[6:7], v[12:13], v[6:7]
	v_fmac_f64_e32 v[8:9], v[12:13], v[4:5]
	v_fma_f64 v[6:7], v[4:5], v[14:15], -v[6:7]
	v_mul_f64 v[4:5], v[8:9], s[4:5]
	v_mul_f64 v[6:7], v[6:7], s[4:5]
	global_store_dwordx4 v[16:17], v[4:7], off
	global_load_dwordx4 v[4:7], v173, s[8:9] offset:448
	ds_read_b128 v[8:11], v2 offset:448
	ds_read_b128 v[12:15], v2 offset:672
	v_mad_u64_u32 v[16:17], s[6:7], s0, v3, v[16:17]
	v_add_u32_e32 v17, s2, v17
	s_waitcnt vmcnt(0) lgkmcnt(1)
	v_mul_f64 v[18:19], v[10:11], v[6:7]
	v_mul_f64 v[6:7], v[8:9], v[6:7]
	v_fmac_f64_e32 v[18:19], v[8:9], v[4:5]
	v_fma_f64 v[6:7], v[4:5], v[10:11], -v[6:7]
	v_mul_f64 v[4:5], v[18:19], s[4:5]
	v_mul_f64 v[6:7], v[6:7], s[4:5]
	global_store_dwordx4 v[16:17], v[4:7], off
	global_load_dwordx4 v[4:7], v173, s[8:9] offset:672
	v_mad_u64_u32 v[16:17], s[6:7], s0, v3, v[16:17]
	v_add_u32_e32 v17, s2, v17
	s_waitcnt vmcnt(0) lgkmcnt(0)
	v_mul_f64 v[8:9], v[14:15], v[6:7]
	v_mul_f64 v[6:7], v[12:13], v[6:7]
	v_fmac_f64_e32 v[8:9], v[12:13], v[4:5]
	v_fma_f64 v[6:7], v[4:5], v[14:15], -v[6:7]
	v_mul_f64 v[4:5], v[8:9], s[4:5]
	v_mul_f64 v[6:7], v[6:7], s[4:5]
	global_store_dwordx4 v[16:17], v[4:7], off
	global_load_dwordx4 v[4:7], v173, s[8:9] offset:896
	ds_read_b128 v[8:11], v2 offset:896
	ds_read_b128 v[12:15], v2 offset:1120
	v_mad_u64_u32 v[16:17], s[6:7], s0, v3, v[16:17]
	v_add_u32_e32 v17, s2, v17
	;; [unrolled: 24-line block ×3, first 2 shown]
	s_waitcnt vmcnt(0) lgkmcnt(1)
	v_mul_f64 v[18:19], v[10:11], v[6:7]
	v_mul_f64 v[6:7], v[8:9], v[6:7]
	v_fmac_f64_e32 v[18:19], v[8:9], v[4:5]
	v_fma_f64 v[6:7], v[4:5], v[10:11], -v[6:7]
	v_mul_f64 v[4:5], v[18:19], s[4:5]
	v_mul_f64 v[6:7], v[6:7], s[4:5]
	global_store_dwordx4 v[16:17], v[4:7], off
	global_load_dwordx4 v[4:7], v173, s[8:9] offset:1568
	v_mad_u64_u32 v[16:17], s[6:7], s0, v3, v[16:17]
	v_add_u32_e32 v17, s2, v17
	v_mad_u64_u32 v[18:19], s[6:7], s0, v21, 0
	v_mov_b32_e32 v20, v19
	v_mad_u64_u32 v[20:21], s[6:7], s1, v21, v[20:21]
	v_mov_b32_e32 v19, v20
	v_lshl_add_u64 v[18:19], v[18:19], 4, v[0:1]
	s_waitcnt vmcnt(0) lgkmcnt(0)
	v_mul_f64 v[8:9], v[14:15], v[6:7]
	v_mul_f64 v[6:7], v[12:13], v[6:7]
	v_fmac_f64_e32 v[8:9], v[12:13], v[4:5]
	v_fma_f64 v[6:7], v[4:5], v[14:15], -v[6:7]
	v_mul_f64 v[4:5], v[8:9], s[4:5]
	v_mul_f64 v[6:7], v[6:7], s[4:5]
	global_store_dwordx4 v[16:17], v[4:7], off
	global_load_dwordx4 v[4:7], v173, s[8:9] offset:1792
	ds_read_b128 v[8:11], v2 offset:1792
	ds_read_b128 v[12:15], v2 offset:2016
	s_waitcnt vmcnt(0) lgkmcnt(1)
	v_mul_f64 v[20:21], v[10:11], v[6:7]
	v_mul_f64 v[6:7], v[8:9], v[6:7]
	v_fmac_f64_e32 v[20:21], v[8:9], v[4:5]
	v_fma_f64 v[6:7], v[4:5], v[10:11], -v[6:7]
	v_mul_f64 v[4:5], v[20:21], s[4:5]
	v_mul_f64 v[6:7], v[6:7], s[4:5]
	global_store_dwordx4 v[18:19], v[4:7], off
	global_load_dwordx4 v[4:7], v173, s[8:9] offset:2016
	v_mov_b32_e32 v8, 0x1c0
	v_mad_u64_u32 v[16:17], s[6:7], s0, v8, v[16:17]
	v_add_u32_e32 v17, s3, v17
	s_waitcnt vmcnt(0) lgkmcnt(0)
	v_mul_f64 v[8:9], v[14:15], v[6:7]
	v_mul_f64 v[6:7], v[12:13], v[6:7]
	v_fmac_f64_e32 v[8:9], v[12:13], v[4:5]
	v_fma_f64 v[6:7], v[4:5], v[14:15], -v[6:7]
	v_mul_f64 v[4:5], v[8:9], s[4:5]
	v_mul_f64 v[6:7], v[6:7], s[4:5]
	global_store_dwordx4 v[16:17], v[4:7], off
	global_load_dwordx4 v[4:7], v173, s[8:9] offset:2240
	ds_read_b128 v[8:11], v2 offset:2240
	ds_read_b128 v[12:15], v2 offset:2464
	v_mad_u64_u32 v[16:17], s[6:7], s0, v3, v[16:17]
	v_add_u32_e32 v17, s2, v17
	s_waitcnt vmcnt(0) lgkmcnt(1)
	v_mul_f64 v[18:19], v[10:11], v[6:7]
	v_mul_f64 v[6:7], v[8:9], v[6:7]
	v_fmac_f64_e32 v[18:19], v[8:9], v[4:5]
	v_fma_f64 v[6:7], v[4:5], v[10:11], -v[6:7]
	v_mul_f64 v[4:5], v[18:19], s[4:5]
	v_mul_f64 v[6:7], v[6:7], s[4:5]
	global_store_dwordx4 v[16:17], v[4:7], off
	global_load_dwordx4 v[4:7], v173, s[8:9] offset:2464
	v_mad_u64_u32 v[16:17], s[6:7], s0, v3, v[16:17]
	v_add_u32_e32 v17, s2, v17
	s_waitcnt vmcnt(0) lgkmcnt(0)
	v_mul_f64 v[8:9], v[14:15], v[6:7]
	v_mul_f64 v[6:7], v[12:13], v[6:7]
	v_fmac_f64_e32 v[8:9], v[12:13], v[4:5]
	v_fma_f64 v[6:7], v[4:5], v[14:15], -v[6:7]
	v_mul_f64 v[4:5], v[8:9], s[4:5]
	v_mul_f64 v[6:7], v[6:7], s[4:5]
	global_store_dwordx4 v[16:17], v[4:7], off
	global_load_dwordx4 v[4:7], v173, s[8:9] offset:2688
	ds_read_b128 v[8:11], v2 offset:2688
	ds_read_b128 v[12:15], v2 offset:2912
	v_mad_u64_u32 v[16:17], s[6:7], s0, v3, v[16:17]
	v_add_u32_e32 v17, s2, v17
	s_waitcnt vmcnt(0) lgkmcnt(1)
	v_mul_f64 v[18:19], v[10:11], v[6:7]
	v_mul_f64 v[6:7], v[8:9], v[6:7]
	v_fmac_f64_e32 v[18:19], v[8:9], v[4:5]
	v_fma_f64 v[6:7], v[4:5], v[10:11], -v[6:7]
	v_mul_f64 v[4:5], v[18:19], s[4:5]
	v_mul_f64 v[6:7], v[6:7], s[4:5]
	global_store_dwordx4 v[16:17], v[4:7], off
	global_load_dwordx4 v[4:7], v173, s[8:9] offset:2912
	;; [unrolled: 24-line block ×3, first 2 shown]
	v_mad_u64_u32 v[8:9], s[6:7], s0, v3, v[16:17]
	v_add_u32_e32 v9, s2, v9
	v_or_b32_e32 v3, 0xe0, v172
	s_waitcnt vmcnt(0) lgkmcnt(0)
	v_mul_f64 v[10:11], v[14:15], v[6:7]
	v_mul_f64 v[6:7], v[12:13], v[6:7]
	v_fmac_f64_e32 v[10:11], v[12:13], v[4:5]
	v_fma_f64 v[6:7], v[4:5], v[14:15], -v[6:7]
	v_mul_f64 v[4:5], v[10:11], s[4:5]
	v_mul_f64 v[6:7], v[6:7], s[4:5]
	global_store_dwordx4 v[8:9], v[4:7], off
	global_load_dwordx4 v[4:7], v173, s[8:9] offset:3584
	ds_read_b128 v[8:11], v2 offset:3584
	v_mad_u64_u32 v[12:13], s[2:3], s0, v3, 0
	v_mov_b32_e32 v2, v13
	v_mad_u64_u32 v[2:3], s[0:1], s1, v3, v[2:3]
	v_mov_b32_e32 v13, v2
	v_lshl_add_u64 v[0:1], v[12:13], 4, v[0:1]
	s_waitcnt vmcnt(0) lgkmcnt(0)
	v_mul_f64 v[2:3], v[10:11], v[6:7]
	v_mul_f64 v[6:7], v[8:9], v[6:7]
	v_fmac_f64_e32 v[2:3], v[8:9], v[4:5]
	v_fma_f64 v[4:5], v[4:5], v[10:11], -v[6:7]
	v_mul_f64 v[2:3], v[2:3], s[4:5]
	v_mul_f64 v[4:5], v[4:5], s[4:5]
	global_store_dwordx4 v[0:1], v[2:5], off
.LBB0_15:
	s_endpgm
	.section	.rodata,"a",@progbits
	.p2align	6, 0x0
	.amdhsa_kernel bluestein_single_fwd_len238_dim1_dp_op_CI_CI
		.amdhsa_group_segment_fixed_size 11424
		.amdhsa_private_segment_fixed_size 0
		.amdhsa_kernarg_size 104
		.amdhsa_user_sgpr_count 2
		.amdhsa_user_sgpr_dispatch_ptr 0
		.amdhsa_user_sgpr_queue_ptr 0
		.amdhsa_user_sgpr_kernarg_segment_ptr 1
		.amdhsa_user_sgpr_dispatch_id 0
		.amdhsa_user_sgpr_kernarg_preload_length 0
		.amdhsa_user_sgpr_kernarg_preload_offset 0
		.amdhsa_user_sgpr_private_segment_size 0
		.amdhsa_uses_dynamic_stack 0
		.amdhsa_enable_private_segment 0
		.amdhsa_system_sgpr_workgroup_id_x 1
		.amdhsa_system_sgpr_workgroup_id_y 0
		.amdhsa_system_sgpr_workgroup_id_z 0
		.amdhsa_system_sgpr_workgroup_info 0
		.amdhsa_system_vgpr_workitem_id 0
		.amdhsa_next_free_vgpr 308
		.amdhsa_next_free_sgpr 60
		.amdhsa_accum_offset 256
		.amdhsa_reserve_vcc 1
		.amdhsa_float_round_mode_32 0
		.amdhsa_float_round_mode_16_64 0
		.amdhsa_float_denorm_mode_32 3
		.amdhsa_float_denorm_mode_16_64 3
		.amdhsa_dx10_clamp 1
		.amdhsa_ieee_mode 1
		.amdhsa_fp16_overflow 0
		.amdhsa_tg_split 0
		.amdhsa_exception_fp_ieee_invalid_op 0
		.amdhsa_exception_fp_denorm_src 0
		.amdhsa_exception_fp_ieee_div_zero 0
		.amdhsa_exception_fp_ieee_overflow 0
		.amdhsa_exception_fp_ieee_underflow 0
		.amdhsa_exception_fp_ieee_inexact 0
		.amdhsa_exception_int_div_zero 0
	.end_amdhsa_kernel
	.text
.Lfunc_end0:
	.size	bluestein_single_fwd_len238_dim1_dp_op_CI_CI, .Lfunc_end0-bluestein_single_fwd_len238_dim1_dp_op_CI_CI
                                        ; -- End function
	.section	.AMDGPU.csdata,"",@progbits
; Kernel info:
; codeLenInByte = 23532
; NumSgprs: 66
; NumVgprs: 256
; NumAgprs: 52
; TotalNumVgprs: 308
; ScratchSize: 0
; MemoryBound: 0
; FloatMode: 240
; IeeeMode: 1
; LDSByteSize: 11424 bytes/workgroup (compile time only)
; SGPRBlocks: 8
; VGPRBlocks: 38
; NumSGPRsForWavesPerEU: 66
; NumVGPRsForWavesPerEU: 308
; AccumOffset: 256
; Occupancy: 1
; WaveLimiterHint : 1
; COMPUTE_PGM_RSRC2:SCRATCH_EN: 0
; COMPUTE_PGM_RSRC2:USER_SGPR: 2
; COMPUTE_PGM_RSRC2:TRAP_HANDLER: 0
; COMPUTE_PGM_RSRC2:TGID_X_EN: 1
; COMPUTE_PGM_RSRC2:TGID_Y_EN: 0
; COMPUTE_PGM_RSRC2:TGID_Z_EN: 0
; COMPUTE_PGM_RSRC2:TIDIG_COMP_CNT: 0
; COMPUTE_PGM_RSRC3_GFX90A:ACCUM_OFFSET: 63
; COMPUTE_PGM_RSRC3_GFX90A:TG_SPLIT: 0
	.text
	.p2alignl 6, 3212836864
	.fill 256, 4, 3212836864
	.type	__hip_cuid_f2ba158d44030679,@object ; @__hip_cuid_f2ba158d44030679
	.section	.bss,"aw",@nobits
	.globl	__hip_cuid_f2ba158d44030679
__hip_cuid_f2ba158d44030679:
	.byte	0                               ; 0x0
	.size	__hip_cuid_f2ba158d44030679, 1

	.ident	"AMD clang version 19.0.0git (https://github.com/RadeonOpenCompute/llvm-project roc-6.4.0 25133 c7fe45cf4b819c5991fe208aaa96edf142730f1d)"
	.section	".note.GNU-stack","",@progbits
	.addrsig
	.addrsig_sym __hip_cuid_f2ba158d44030679
	.amdgpu_metadata
---
amdhsa.kernels:
  - .agpr_count:     52
    .args:
      - .actual_access:  read_only
        .address_space:  global
        .offset:         0
        .size:           8
        .value_kind:     global_buffer
      - .actual_access:  read_only
        .address_space:  global
        .offset:         8
        .size:           8
        .value_kind:     global_buffer
      - .actual_access:  read_only
        .address_space:  global
        .offset:         16
        .size:           8
        .value_kind:     global_buffer
      - .actual_access:  read_only
        .address_space:  global
        .offset:         24
        .size:           8
        .value_kind:     global_buffer
      - .actual_access:  read_only
        .address_space:  global
        .offset:         32
        .size:           8
        .value_kind:     global_buffer
      - .offset:         40
        .size:           8
        .value_kind:     by_value
      - .address_space:  global
        .offset:         48
        .size:           8
        .value_kind:     global_buffer
      - .address_space:  global
        .offset:         56
        .size:           8
        .value_kind:     global_buffer
      - .address_space:  global
        .offset:         64
        .size:           8
        .value_kind:     global_buffer
      - .address_space:  global
        .offset:         72
        .size:           8
        .value_kind:     global_buffer
      - .offset:         80
        .size:           4
        .value_kind:     by_value
      - .address_space:  global
        .offset:         88
        .size:           8
        .value_kind:     global_buffer
      - .address_space:  global
        .offset:         96
        .size:           8
        .value_kind:     global_buffer
    .group_segment_fixed_size: 11424
    .kernarg_segment_align: 8
    .kernarg_segment_size: 104
    .language:       OpenCL C
    .language_version:
      - 2
      - 0
    .max_flat_workgroup_size: 51
    .name:           bluestein_single_fwd_len238_dim1_dp_op_CI_CI
    .private_segment_fixed_size: 0
    .sgpr_count:     66
    .sgpr_spill_count: 0
    .symbol:         bluestein_single_fwd_len238_dim1_dp_op_CI_CI.kd
    .uniform_work_group_size: 1
    .uses_dynamic_stack: false
    .vgpr_count:     308
    .vgpr_spill_count: 0
    .wavefront_size: 64
amdhsa.target:   amdgcn-amd-amdhsa--gfx950
amdhsa.version:
  - 1
  - 2
...

	.end_amdgpu_metadata
